;; amdgpu-corpus repo=ROCm/rocFFT kind=compiled arch=gfx1201 opt=O3
	.text
	.amdgcn_target "amdgcn-amd-amdhsa--gfx1201"
	.amdhsa_code_object_version 6
	.protected	fft_rtc_fwd_len289_factors_17_17_wgs_119_tpt_17_sp_op_CI_CI_sbcc ; -- Begin function fft_rtc_fwd_len289_factors_17_17_wgs_119_tpt_17_sp_op_CI_CI_sbcc
	.globl	fft_rtc_fwd_len289_factors_17_17_wgs_119_tpt_17_sp_op_CI_CI_sbcc
	.p2align	8
	.type	fft_rtc_fwd_len289_factors_17_17_wgs_119_tpt_17_sp_op_CI_CI_sbcc,@function
fft_rtc_fwd_len289_factors_17_17_wgs_119_tpt_17_sp_op_CI_CI_sbcc: ; @fft_rtc_fwd_len289_factors_17_17_wgs_119_tpt_17_sp_op_CI_CI_sbcc
; %bb.0:
	s_clause 0x1
	s_load_b128 s[12:15], s[0:1], 0x18
	s_load_b64 s[24:25], s[0:1], 0x28
	s_mov_b32 s3, 0
	s_mov_b32 s4, 0x92481000
	s_movk_i32 s5, 0x64
	s_mov_b32 s2, s3
	s_mov_b64 s[18:19], 0
	s_add_nc_u64 s[4:5], s[2:3], s[4:5]
	s_delay_alu instid0(SALU_CYCLE_1) | instskip(NEXT) | instid1(SALU_CYCLE_1)
	s_add_co_i32 s5, s5, 0x249248c0
	s_mul_u64 s[6:7], s[4:5], -7
	s_delay_alu instid0(SALU_CYCLE_1)
	s_mul_hi_u32 s9, s4, s7
	s_mul_i32 s8, s4, s7
	s_mul_hi_u32 s2, s4, s6
	s_mul_i32 s11, s5, s6
	s_add_nc_u64 s[8:9], s[2:3], s[8:9]
	s_mul_hi_u32 s10, s5, s6
	s_mul_hi_u32 s16, s5, s7
	s_wait_kmcnt 0x0
	s_load_b64 s[26:27], s[12:13], 0x8
	s_add_co_u32 s2, s8, s11
	s_add_co_ci_u32 s2, s9, s10
	s_mul_i32 s6, s5, s7
	s_add_co_ci_u32 s7, s16, 0
	s_delay_alu instid0(SALU_CYCLE_1) | instskip(NEXT) | instid1(SALU_CYCLE_1)
	s_add_nc_u64 s[6:7], s[2:3], s[6:7]
	v_add_co_u32 v1, s2, s4, s6
	s_delay_alu instid0(VALU_DEP_1) | instskip(SKIP_1) | instid1(VALU_DEP_1)
	s_cmp_lg_u32 s2, 0
	s_add_co_ci_u32 s8, s5, s7
	v_readfirstlane_b32 s9, v1
	s_wait_kmcnt 0x0
	s_add_nc_u64 s[4:5], s[26:27], -1
	s_wait_alu 0xfffe
	s_mul_hi_u32 s7, s4, s8
	s_mul_i32 s6, s4, s8
	s_mul_hi_u32 s2, s4, s9
	s_mul_hi_u32 s11, s5, s9
	s_mul_i32 s9, s5, s9
	s_wait_alu 0xfffe
	s_add_nc_u64 s[6:7], s[2:3], s[6:7]
	s_mul_hi_u32 s10, s5, s8
	s_wait_alu 0xfffe
	s_add_co_u32 s2, s6, s9
	s_add_co_ci_u32 s2, s7, s11
	s_mul_i32 s8, s5, s8
	s_add_co_ci_u32 s9, s10, 0
	s_delay_alu instid0(SALU_CYCLE_1) | instskip(SKIP_2) | instid1(SALU_CYCLE_1)
	s_add_nc_u64 s[6:7], s[2:3], s[8:9]
	s_wait_alu 0xfffe
	s_mul_u64 s[8:9], s[6:7], 7
	v_sub_co_u32 v1, s2, s4, s8
	s_delay_alu instid0(VALU_DEP_1) | instskip(SKIP_1) | instid1(VALU_DEP_1)
	s_cmp_lg_u32 s2, 0
	s_sub_co_ci_u32 s10, s5, s9
	v_sub_co_u32 v2, s4, v1, 7
	s_delay_alu instid0(VALU_DEP_1) | instskip(SKIP_2) | instid1(VALU_DEP_2)
	s_cmp_lg_u32 s4, 0
	v_readfirstlane_b32 s11, v1
	s_sub_co_ci_u32 s8, s10, 0
	v_readfirstlane_b32 s2, v2
	s_add_nc_u64 s[4:5], s[6:7], 1
	s_delay_alu instid0(VALU_DEP_1)
	s_cmp_gt_u32 s2, 6
	s_cselect_b32 s2, -1, 0
	s_wait_alu 0xfffe
	s_cmp_eq_u32 s8, 0
	s_add_nc_u64 s[8:9], s[6:7], 2
	s_cselect_b32 s2, s2, -1
	s_delay_alu instid0(SALU_CYCLE_1)
	s_cmp_lg_u32 s2, 0
	s_wait_alu 0xfffe
	s_cselect_b32 s2, s8, s4
	s_cselect_b32 s4, s9, s5
	s_cmp_gt_u32 s11, 6
	s_cselect_b32 s5, -1, 0
	s_cmp_eq_u32 s10, 0
	s_wait_alu 0xfffe
	s_cselect_b32 s5, s5, -1
	s_wait_alu 0xfffe
	s_cmp_lg_u32 s5, 0
	s_cselect_b32 s5, s4, s7
	s_cselect_b32 s4, s2, s6
	s_mov_b32 s2, ttmp9
	s_wait_alu 0xfffe
	s_add_nc_u64 s[30:31], s[4:5], 1
	s_delay_alu instid0(SALU_CYCLE_1) | instskip(NEXT) | instid1(VALU_DEP_1)
	v_cmp_lt_u64_e64 s4, s[2:3], s[30:31]
	s_and_b32 vcc_lo, exec_lo, s4
	s_cbranch_vccnz .LBB0_2
; %bb.1:
	v_cvt_f32_u32_e32 v1, s30
	s_sub_co_i32 s5, 0, s30
	s_mov_b32 s19, s3
	s_delay_alu instid0(VALU_DEP_1) | instskip(NEXT) | instid1(TRANS32_DEP_1)
	v_rcp_iflag_f32_e32 v1, v1
	v_mul_f32_e32 v1, 0x4f7ffffe, v1
	s_delay_alu instid0(VALU_DEP_1) | instskip(NEXT) | instid1(VALU_DEP_1)
	v_cvt_u32_f32_e32 v1, v1
	v_readfirstlane_b32 s4, v1
	s_wait_alu 0xfffe
	s_delay_alu instid0(VALU_DEP_1)
	s_mul_i32 s5, s5, s4
	s_wait_alu 0xfffe
	s_mul_hi_u32 s5, s4, s5
	s_wait_alu 0xfffe
	s_add_co_i32 s4, s4, s5
	s_wait_alu 0xfffe
	s_mul_hi_u32 s4, s2, s4
	s_wait_alu 0xfffe
	s_mul_i32 s5, s4, s30
	s_add_co_i32 s6, s4, 1
	s_wait_alu 0xfffe
	s_sub_co_i32 s5, s2, s5
	s_wait_alu 0xfffe
	s_sub_co_i32 s7, s5, s30
	s_cmp_ge_u32 s5, s30
	s_cselect_b32 s4, s6, s4
	s_wait_alu 0xfffe
	s_cselect_b32 s5, s7, s5
	s_add_co_i32 s6, s4, 1
	s_wait_alu 0xfffe
	s_cmp_ge_u32 s5, s30
	s_cselect_b32 s18, s6, s4
.LBB0_2:
	s_load_b64 s[34:35], s[0:1], 0x10
	s_load_b128 s[8:11], s[14:15], 0x0
	s_load_b128 s[4:7], s[24:25], 0x0
	s_load_b64 s[20:21], s[0:1], 0x0
	s_mul_u64 s[16:17], s[18:19], s[30:31]
	s_delay_alu instid0(SALU_CYCLE_1) | instskip(NEXT) | instid1(SALU_CYCLE_1)
	s_sub_nc_u64 s[16:17], s[2:3], s[16:17]
	s_mul_u64 s[22:23], s[16:17], 7
	s_wait_kmcnt 0x0
	v_cmp_lt_u64_e64 s33, s[34:35], 3
	s_mul_u64 s[28:29], s[10:11], s[22:23]
	s_mul_u64 s[16:17], s[6:7], s[22:23]
	s_delay_alu instid0(VALU_DEP_1)
	s_and_b32 vcc_lo, exec_lo, s33
	s_cbranch_vccnz .LBB0_12
; %bb.3:
	s_add_nc_u64 s[36:37], s[24:25], 16
	s_add_nc_u64 s[38:39], s[14:15], 16
	;; [unrolled: 1-line block ×3, first 2 shown]
	s_mov_b64 s[40:41], 2
	s_mov_b32 s42, 0
.LBB0_4:                                ; =>This Inner Loop Header: Depth=1
	s_load_b64 s[44:45], s[12:13], 0x0
                                        ; implicit-def: $sgpr48_sgpr49
	s_wait_kmcnt 0x0
	s_or_b64 s[46:47], s[18:19], s[44:45]
	s_delay_alu instid0(SALU_CYCLE_1)
	s_mov_b32 s43, s47
	s_mov_b32 s47, -1
	s_cmp_lg_u64 s[42:43], 0
	s_cbranch_scc0 .LBB0_6
; %bb.5:                                ;   in Loop: Header=BB0_4 Depth=1
	s_cvt_f32_u32 s33, s44
	s_cvt_f32_u32 s43, s45
	s_sub_nc_u64 s[50:51], 0, s[44:45]
	s_mov_b32 s47, 0
	s_mov_b32 s55, s42
	s_wait_alu 0xfffe
	s_fmamk_f32 s33, s43, 0x4f800000, s33
	s_wait_alu 0xfffe
	s_delay_alu instid0(SALU_CYCLE_2) | instskip(NEXT) | instid1(TRANS32_DEP_1)
	v_s_rcp_f32 s33, s33
	s_mul_f32 s33, s33, 0x5f7ffffc
	s_wait_alu 0xfffe
	s_delay_alu instid0(SALU_CYCLE_2) | instskip(NEXT) | instid1(SALU_CYCLE_3)
	s_mul_f32 s43, s33, 0x2f800000
	s_trunc_f32 s43, s43
	s_delay_alu instid0(SALU_CYCLE_3) | instskip(SKIP_2) | instid1(SALU_CYCLE_1)
	s_fmamk_f32 s33, s43, 0xcf800000, s33
	s_cvt_u32_f32 s49, s43
	s_wait_alu 0xfffe
	s_cvt_u32_f32 s48, s33
	s_wait_alu 0xfffe
	s_delay_alu instid0(SALU_CYCLE_2)
	s_mul_u64 s[52:53], s[50:51], s[48:49]
	s_wait_alu 0xfffe
	s_mul_hi_u32 s57, s48, s53
	s_mul_i32 s56, s48, s53
	s_mul_hi_u32 s46, s48, s52
	s_mul_i32 s43, s49, s52
	s_add_nc_u64 s[56:57], s[46:47], s[56:57]
	s_mul_hi_u32 s33, s49, s52
	s_mul_hi_u32 s58, s49, s53
	s_add_co_u32 s43, s56, s43
	s_wait_alu 0xfffe
	s_add_co_ci_u32 s54, s57, s33
	s_mul_i32 s52, s49, s53
	s_add_co_ci_u32 s53, s58, 0
	s_wait_alu 0xfffe
	s_add_nc_u64 s[52:53], s[54:55], s[52:53]
	s_wait_alu 0xfffe
	v_add_co_u32 v1, s33, s48, s52
	s_delay_alu instid0(VALU_DEP_1) | instskip(SKIP_1) | instid1(VALU_DEP_1)
	s_cmp_lg_u32 s33, 0
	s_add_co_ci_u32 s49, s49, s53
	v_readfirstlane_b32 s48, v1
	s_mov_b32 s53, s42
	s_wait_alu 0xfffe
	s_delay_alu instid0(VALU_DEP_1)
	s_mul_u64 s[50:51], s[50:51], s[48:49]
	s_wait_alu 0xfffe
	s_mul_hi_u32 s55, s48, s51
	s_mul_i32 s54, s48, s51
	s_mul_hi_u32 s46, s48, s50
	s_mul_i32 s43, s49, s50
	s_add_nc_u64 s[54:55], s[46:47], s[54:55]
	s_mul_hi_u32 s33, s49, s50
	s_mul_hi_u32 s48, s49, s51
	s_add_co_u32 s43, s54, s43
	s_wait_alu 0xfffe
	s_add_co_ci_u32 s52, s55, s33
	s_mul_i32 s50, s49, s51
	s_add_co_ci_u32 s51, s48, 0
	s_wait_alu 0xfffe
	s_add_nc_u64 s[50:51], s[52:53], s[50:51]
	s_wait_alu 0xfffe
	v_add_co_u32 v1, s33, v1, s50
	s_delay_alu instid0(VALU_DEP_1) | instskip(SKIP_1) | instid1(VALU_DEP_1)
	s_cmp_lg_u32 s33, 0
	s_add_co_ci_u32 s33, s49, s51
	v_readfirstlane_b32 s43, v1
	s_wait_alu 0xfffe
	s_mul_hi_u32 s49, s18, s33
	s_mul_i32 s48, s18, s33
	s_mul_hi_u32 s51, s19, s33
	s_mul_i32 s50, s19, s33
	;; [unrolled: 2-line block ×3, first 2 shown]
	s_wait_alu 0xfffe
	s_add_nc_u64 s[48:49], s[46:47], s[48:49]
	s_mul_hi_u32 s43, s19, s43
	s_wait_alu 0xfffe
	s_add_co_u32 s33, s48, s33
	s_add_co_ci_u32 s52, s49, s43
	s_add_co_ci_u32 s51, s51, 0
	s_wait_alu 0xfffe
	s_add_nc_u64 s[48:49], s[52:53], s[50:51]
	s_wait_alu 0xfffe
	s_mul_u64 s[50:51], s[44:45], s[48:49]
	s_add_nc_u64 s[52:53], s[48:49], 1
	s_wait_alu 0xfffe
	v_sub_co_u32 v1, s33, s18, s50
	s_sub_co_i32 s43, s19, s51
	s_cmp_lg_u32 s33, 0
	s_add_nc_u64 s[54:55], s[48:49], 2
	s_delay_alu instid0(VALU_DEP_1) | instskip(SKIP_2) | instid1(VALU_DEP_1)
	v_sub_co_u32 v2, s46, v1, s44
	s_sub_co_ci_u32 s43, s43, s45
	s_cmp_lg_u32 s46, 0
	v_readfirstlane_b32 s46, v2
	s_sub_co_ci_u32 s43, s43, 0
	s_delay_alu instid0(SALU_CYCLE_1) | instskip(SKIP_1) | instid1(VALU_DEP_1)
	s_cmp_ge_u32 s43, s45
	s_cselect_b32 s50, -1, 0
	s_cmp_ge_u32 s46, s44
	s_cselect_b32 s46, -1, 0
	s_cmp_eq_u32 s43, s45
	s_wait_alu 0xfffe
	s_cselect_b32 s43, s46, s50
	s_delay_alu instid0(SALU_CYCLE_1)
	s_cmp_lg_u32 s43, 0
	s_cselect_b32 s43, s54, s52
	s_cselect_b32 s46, s55, s53
	s_cmp_lg_u32 s33, 0
	v_readfirstlane_b32 s33, v1
	s_sub_co_ci_u32 s50, s19, s51
	s_wait_alu 0xfffe
	s_cmp_ge_u32 s50, s45
	s_cselect_b32 s51, -1, 0
	s_cmp_ge_u32 s33, s44
	s_cselect_b32 s33, -1, 0
	s_cmp_eq_u32 s50, s45
	s_wait_alu 0xfffe
	s_cselect_b32 s33, s33, s51
	s_wait_alu 0xfffe
	s_cmp_lg_u32 s33, 0
	s_cselect_b32 s49, s46, s49
	s_cselect_b32 s48, s43, s48
.LBB0_6:                                ;   in Loop: Header=BB0_4 Depth=1
	s_and_not1_b32 vcc_lo, exec_lo, s47
	s_cbranch_vccnz .LBB0_8
; %bb.7:                                ;   in Loop: Header=BB0_4 Depth=1
	v_cvt_f32_u32_e32 v1, s44
	s_sub_co_i32 s43, 0, s44
	s_mov_b32 s49, s42
	s_delay_alu instid0(VALU_DEP_1) | instskip(NEXT) | instid1(TRANS32_DEP_1)
	v_rcp_iflag_f32_e32 v1, v1
	v_mul_f32_e32 v1, 0x4f7ffffe, v1
	s_delay_alu instid0(VALU_DEP_1) | instskip(NEXT) | instid1(VALU_DEP_1)
	v_cvt_u32_f32_e32 v1, v1
	v_readfirstlane_b32 s33, v1
	s_delay_alu instid0(VALU_DEP_1) | instskip(NEXT) | instid1(SALU_CYCLE_1)
	s_mul_i32 s43, s43, s33
	s_mul_hi_u32 s43, s33, s43
	s_delay_alu instid0(SALU_CYCLE_1)
	s_add_co_i32 s33, s33, s43
	s_wait_alu 0xfffe
	s_mul_hi_u32 s33, s18, s33
	s_wait_alu 0xfffe
	s_mul_i32 s43, s33, s44
	s_add_co_i32 s46, s33, 1
	s_sub_co_i32 s43, s18, s43
	s_delay_alu instid0(SALU_CYCLE_1)
	s_sub_co_i32 s47, s43, s44
	s_cmp_ge_u32 s43, s44
	s_cselect_b32 s33, s46, s33
	s_cselect_b32 s43, s47, s43
	s_wait_alu 0xfffe
	s_add_co_i32 s46, s33, 1
	s_cmp_ge_u32 s43, s44
	s_cselect_b32 s48, s46, s33
.LBB0_8:                                ;   in Loop: Header=BB0_4 Depth=1
	s_load_b64 s[46:47], s[38:39], 0x0
	s_load_b64 s[50:51], s[36:37], 0x0
	s_add_nc_u64 s[40:41], s[40:41], 1
	s_mul_u64 s[30:31], s[44:45], s[30:31]
	s_wait_alu 0xfffe
	v_cmp_ge_u64_e64 s33, s[40:41], s[34:35]
	s_mul_u64 s[44:45], s[48:49], s[44:45]
	s_add_nc_u64 s[36:37], s[36:37], 8
	s_wait_alu 0xfffe
	s_sub_nc_u64 s[18:19], s[18:19], s[44:45]
	s_add_nc_u64 s[38:39], s[38:39], 8
	s_add_nc_u64 s[12:13], s[12:13], 8
	s_and_b32 vcc_lo, exec_lo, s33
	s_wait_kmcnt 0x0
	s_wait_alu 0xfffe
	s_mul_u64 s[44:45], s[46:47], s[18:19]
	s_mul_u64 s[18:19], s[50:51], s[18:19]
	s_wait_alu 0xfffe
	s_add_nc_u64 s[28:29], s[44:45], s[28:29]
	s_add_nc_u64 s[16:17], s[18:19], s[16:17]
	s_cbranch_vccnz .LBB0_10
; %bb.9:                                ;   in Loop: Header=BB0_4 Depth=1
	s_mov_b64 s[18:19], s[48:49]
	s_branch .LBB0_4
.LBB0_10:
	v_cmp_lt_u64_e64 s3, s[2:3], s[30:31]
	s_mov_b64 s[18:19], 0
	s_delay_alu instid0(VALU_DEP_1)
	s_and_b32 vcc_lo, exec_lo, s3
	s_cbranch_vccnz .LBB0_12
; %bb.11:
	v_cvt_f32_u32_e32 v1, s30
	s_sub_co_i32 s12, 0, s30
	s_mov_b32 s19, 0
	s_delay_alu instid0(VALU_DEP_1) | instskip(NEXT) | instid1(TRANS32_DEP_1)
	v_rcp_iflag_f32_e32 v1, v1
	v_mul_f32_e32 v1, 0x4f7ffffe, v1
	s_delay_alu instid0(VALU_DEP_1) | instskip(NEXT) | instid1(VALU_DEP_1)
	v_cvt_u32_f32_e32 v1, v1
	v_readfirstlane_b32 s3, v1
	s_delay_alu instid0(VALU_DEP_1) | instskip(NEXT) | instid1(SALU_CYCLE_1)
	s_mul_i32 s12, s12, s3
	s_mul_hi_u32 s12, s3, s12
	s_delay_alu instid0(SALU_CYCLE_1) | instskip(SKIP_4) | instid1(SALU_CYCLE_1)
	s_add_co_i32 s3, s3, s12
	s_wait_alu 0xfffe
	s_mul_hi_u32 s3, s2, s3
	s_wait_alu 0xfffe
	s_mul_i32 s12, s3, s30
	s_sub_co_i32 s2, s2, s12
	s_add_co_i32 s12, s3, 1
	s_wait_alu 0xfffe
	s_sub_co_i32 s13, s2, s30
	s_cmp_ge_u32 s2, s30
	s_cselect_b32 s3, s12, s3
	s_cselect_b32 s2, s13, s2
	s_wait_alu 0xfffe
	s_add_co_i32 s12, s3, 1
	s_cmp_ge_u32 s2, s30
	s_cselect_b32 s18, s12, s3
.LBB0_12:
	v_mul_u32_u24_e32 v1, 0x2493, v0
	s_load_b128 s[0:3], s[0:1], 0x60
	s_add_nc_u64 s[12:13], s[22:23], 7
	s_lshl_b64 s[30:31], s[34:35], 3
	v_cmp_le_u64_e64 s33, s[12:13], s[26:27]
	v_lshrrev_b32_e32 v42, 16, v1
	s_delay_alu instid0(VALU_DEP_1)
	v_mul_lo_u16 v1, v42, 7
	v_lshlrev_b32_e32 v43, 3, v42
	v_add_nc_u32_e32 v41, 17, v42
	v_add_nc_u32_e32 v40, 34, v42
	v_add_nc_u32_e32 v39, 51, v42
	v_sub_nc_u16 v1, v0, v1
	v_add_nc_u32_e32 v38, 0x44, v42
	v_add_nc_u32_e32 v37, 0x55, v42
	;; [unrolled: 1-line block ×4, first 2 shown]
	v_and_b32_e32 v44, 0xffff, v1
	v_add_nc_u32_e32 v34, 0x88, v42
	v_add_nc_u32_e32 v33, 0x99, v42
	;; [unrolled: 1-line block ×4, first 2 shown]
	v_add_co_u32 v1, s12, s22, v44
	s_wait_alu 0xf1ff
	v_add_co_ci_u32_e64 v2, null, s23, 0, s12
	v_add_nc_u32_e32 v30, 0xcc, v42
	v_mul_u32_u24_e32 v45, 0x908, v44
	v_add_nc_u32_e32 v29, 0xdd, v42
	s_delay_alu instid0(VALU_DEP_4)
	v_cmp_gt_u64_e32 vcc_lo, s[26:27], v[1:2]
	v_add_nc_u32_e32 v27, 0xee, v42
	v_add_nc_u32_e32 v28, 0xff, v42
	;; [unrolled: 1-line block ×3, first 2 shown]
	s_wait_alu 0xfffe
	s_add_nc_u64 s[12:13], s[24:25], s[30:31]
	s_mov_b32 s24, 0
	s_or_b32 s26, s33, vcc_lo
	s_wait_alu 0xfffe
	s_and_saveexec_b32 s25, s26
	s_cbranch_execz .LBB0_14
; %bb.13:
	s_add_nc_u64 s[14:15], s[14:15], s[30:31]
	v_mad_co_u64_u32 v[1:2], null, s10, v44, 0
	s_load_b64 s[14:15], s[14:15], 0x0
	v_mad_co_u64_u32 v[3:4], null, s8, v42, 0
	v_mad_co_u64_u32 v[5:6], null, s8, v41, 0
	;; [unrolled: 1-line block ×4, first 2 shown]
	s_delay_alu instid0(VALU_DEP_4)
	v_mad_co_u64_u32 v[7:8], null, s11, v44, v[2:3]
	v_mad_co_u64_u32 v[8:9], null, s8, v40, 0
	v_mov_b32_e32 v2, v4
	v_mov_b32_e32 v4, v6
	s_lshl_b64 s[10:11], s[28:29], 3
	v_mad_co_u64_u32 v[23:24], null, s8, v32, 0
	s_delay_alu instid0(VALU_DEP_3)
	v_mad_co_u64_u32 v[10:11], null, s9, v42, v[2:3]
	v_mov_b32_e32 v2, v7
	s_wait_kmcnt 0x0
	s_mul_u64 s[14:15], s[14:15], s[18:19]
	v_mad_co_u64_u32 v[11:12], null, s8, v39, 0
	s_lshl_b64 s[14:15], s[14:15], 3
	v_lshlrev_b64_e32 v[1:2], 3, v[1:2]
	s_add_nc_u64 s[0:1], s[0:1], s[14:15]
	v_mad_co_u64_u32 v[6:7], null, s9, v41, v[4:5]
	v_mov_b32_e32 v4, v10
	s_wait_alu 0xfffe
	s_add_nc_u64 s[0:1], s[0:1], s[10:11]
	v_mad_co_u64_u32 v[46:47], null, s8, v31, 0
	v_add_co_u32 v58, vcc_lo, s0, v1
	v_add_co_ci_u32_e32 v59, vcc_lo, s1, v2, vcc_lo
	v_lshlrev_b64_e32 v[2:3], 3, v[3:4]
	v_dual_mov_b32 v4, v12 :: v_dual_mov_b32 v1, v9
	s_delay_alu instid0(VALU_DEP_1) | instskip(SKIP_2) | instid1(VALU_DEP_4)
	v_mad_co_u64_u32 v[12:13], null, s9, v39, v[4:5]
	v_mad_co_u64_u32 v[13:14], null, s8, v38, 0
	v_lshlrev_b64_e32 v[4:5], 3, v[5:6]
	v_mad_co_u64_u32 v[9:10], null, s9, v40, v[1:2]
	v_add_co_u32 v1, vcc_lo, v58, v2
	s_wait_alu 0xfffd
	v_add_co_ci_u32_e32 v2, vcc_lo, v59, v3, vcc_lo
	v_mov_b32_e32 v3, v14
	v_add_co_u32 v4, vcc_lo, v58, v4
	v_lshlrev_b64_e32 v[6:7], 3, v[8:9]
	v_lshlrev_b64_e32 v[8:9], 3, v[11:12]
	s_wait_alu 0xfffd
	v_add_co_ci_u32_e32 v5, vcc_lo, v59, v5, vcc_lo
	v_mad_co_u64_u32 v[10:11], null, s9, v38, v[3:4]
	v_mad_co_u64_u32 v[11:12], null, s8, v37, 0
	v_add_co_u32 v6, vcc_lo, v58, v6
	s_wait_alu 0xfffd
	v_add_co_ci_u32_e32 v7, vcc_lo, v59, v7, vcc_lo
	v_add_co_u32 v8, vcc_lo, v58, v8
	s_delay_alu instid0(VALU_DEP_4)
	v_mov_b32_e32 v3, v12
	s_wait_alu 0xfffd
	v_add_co_ci_u32_e32 v9, vcc_lo, v59, v9, vcc_lo
	v_mov_b32_e32 v14, v10
	v_mov_b32_e32 v10, v18
	v_mad_co_u64_u32 v[19:20], null, s9, v37, v[3:4]
	s_clause 0x3
	global_load_b64 v[1:2], v[1:2], off
	global_load_b64 v[3:4], v[4:5], off
	;; [unrolled: 1-line block ×4, first 2 shown]
	v_mov_b32_e32 v9, v16
	v_lshlrev_b64_e32 v[13:14], 3, v[13:14]
	v_mov_b32_e32 v12, v19
	s_delay_alu instid0(VALU_DEP_3) | instskip(SKIP_2) | instid1(VALU_DEP_4)
	v_mad_co_u64_u32 v[18:19], null, s9, v36, v[9:10]
	v_mad_co_u64_u32 v[9:10], null, s9, v35, v[10:11]
	v_mad_co_u64_u32 v[19:20], null, s8, v34, 0
	v_lshlrev_b64_e32 v[10:11], 3, v[11:12]
	v_add_co_u32 v12, vcc_lo, v58, v13
	s_wait_alu 0xfffd
	v_add_co_ci_u32_e32 v13, vcc_lo, v59, v14, vcc_lo
	v_mov_b32_e32 v16, v18
	v_dual_mov_b32 v18, v9 :: v_dual_mov_b32 v9, v20
	v_add_co_u32 v10, vcc_lo, v58, v10
	s_delay_alu instid0(VALU_DEP_3) | instskip(NEXT) | instid1(VALU_DEP_3)
	v_lshlrev_b64_e32 v[14:15], 3, v[15:16]
	v_lshlrev_b64_e32 v[16:17], 3, v[17:18]
	s_wait_alu 0xfffd
	v_add_co_ci_u32_e32 v11, vcc_lo, v59, v11, vcc_lo
	v_mad_co_u64_u32 v[20:21], null, s9, v34, v[9:10]
	v_mad_co_u64_u32 v[21:22], null, s8, v33, 0
	v_add_co_u32 v14, vcc_lo, v58, v14
	s_wait_alu 0xfffd
	v_add_co_ci_u32_e32 v15, vcc_lo, v59, v15, vcc_lo
	v_add_co_u32 v16, vcc_lo, v58, v16
	s_delay_alu instid0(VALU_DEP_4)
	v_mov_b32_e32 v9, v22
	s_wait_alu 0xfffd
	v_add_co_ci_u32_e32 v17, vcc_lo, v59, v17, vcc_lo
	v_lshlrev_b64_e32 v[18:19], 3, v[19:20]
	v_mov_b32_e32 v20, v47
	v_mad_co_u64_u32 v[48:49], null, s9, v33, v[9:10]
	s_clause 0x3
	global_load_b64 v[12:13], v[12:13], off
	global_load_b64 v[9:10], v[10:11], off
	;; [unrolled: 1-line block ×4, first 2 shown]
	v_mov_b32_e32 v11, v24
	v_add_co_u32 v18, vcc_lo, v58, v18
	s_wait_alu 0xfffd
	v_add_co_ci_u32_e32 v19, vcc_lo, v59, v19, vcc_lo
	v_mov_b32_e32 v22, v48
	v_mad_co_u64_u32 v[47:48], null, s9, v31, v[20:21]
	v_mad_co_u64_u32 v[48:49], null, s8, v30, 0
	s_delay_alu instid0(VALU_DEP_3) | instskip(NEXT) | instid1(VALU_DEP_1)
	v_lshlrev_b64_e32 v[20:21], 3, v[21:22]
	v_add_co_u32 v20, vcc_lo, v58, v20
	s_wait_alu 0xfffd
	s_delay_alu instid0(VALU_DEP_2) | instskip(SKIP_3) | instid1(VALU_DEP_1)
	v_add_co_ci_u32_e32 v21, vcc_lo, v59, v21, vcc_lo
	s_wait_loadcnt 0x3
	v_mad_co_u64_u32 v[24:25], null, s9, v32, v[11:12]
	v_mov_b32_e32 v11, v49
	v_mad_co_u64_u32 v[49:50], null, s9, v30, v[11:12]
	s_delay_alu instid0(VALU_DEP_3) | instskip(SKIP_3) | instid1(VALU_DEP_4)
	v_lshlrev_b64_e32 v[22:23], 3, v[23:24]
	v_lshlrev_b64_e32 v[24:25], 3, v[46:47]
	v_mad_co_u64_u32 v[46:47], null, s8, v29, 0
	v_mad_co_u64_u32 v[50:51], null, s8, v27, 0
	v_add_co_u32 v22, vcc_lo, v58, v22
	s_wait_alu 0xfffd
	v_add_co_ci_u32_e32 v23, vcc_lo, v59, v23, vcc_lo
	s_delay_alu instid0(VALU_DEP_4)
	v_mov_b32_e32 v11, v47
	v_add_co_u32 v24, vcc_lo, v58, v24
	v_mov_b32_e32 v47, v51
	s_wait_alu 0xfffd
	v_add_co_ci_u32_e32 v25, vcc_lo, v59, v25, vcc_lo
	v_mad_co_u64_u32 v[51:52], null, s9, v29, v[11:12]
	v_mad_co_u64_u32 v[52:53], null, s8, v28, 0
	v_mad_co_u64_u32 v[54:55], null, s9, v27, v[47:48]
	v_mad_co_u64_u32 v[55:56], null, s8, v26, 0
	s_delay_alu instid0(VALU_DEP_4)
	v_mov_b32_e32 v47, v51
	v_lshlrev_b64_e32 v[48:49], 3, v[48:49]
	v_mov_b32_e32 v11, v53
	s_clause 0x3
	global_load_b64 v[18:19], v[18:19], off
	global_load_b64 v[20:21], v[20:21], off
	;; [unrolled: 1-line block ×4, first 2 shown]
	v_mov_b32_e32 v51, v54
	v_lshlrev_b64_e32 v[46:47], 3, v[46:47]
	v_mad_co_u64_u32 v[53:54], null, s9, v28, v[11:12]
	v_mov_b32_e32 v11, v56
	v_add_co_u32 v48, vcc_lo, v58, v48
	v_lshlrev_b64_e32 v[50:51], 3, v[50:51]
	s_wait_alu 0xfffd
	v_add_co_ci_u32_e32 v49, vcc_lo, v59, v49, vcc_lo
	v_mad_co_u64_u32 v[56:57], null, s9, v26, v[11:12]
	v_add_co_u32 v46, vcc_lo, v58, v46
	v_lshlrev_b64_e32 v[52:53], 3, v[52:53]
	s_wait_alu 0xfffd
	v_add_co_ci_u32_e32 v47, vcc_lo, v59, v47, vcc_lo
	v_add_co_u32 v50, vcc_lo, v58, v50
	v_lshlrev_b64_e32 v[54:55], 3, v[55:56]
	s_wait_alu 0xfffd
	v_add_co_ci_u32_e32 v51, vcc_lo, v59, v51, vcc_lo
	v_add_co_u32 v52, vcc_lo, v58, v52
	s_wait_alu 0xfffd
	v_add_co_ci_u32_e32 v53, vcc_lo, v59, v53, vcc_lo
	v_add_co_u32 v54, vcc_lo, v58, v54
	s_wait_alu 0xfffd
	v_add_co_ci_u32_e32 v55, vcc_lo, v59, v55, vcc_lo
	s_clause 0x4
	global_load_b64 v[48:49], v[48:49], off
	global_load_b64 v[46:47], v[46:47], off
	;; [unrolled: 1-line block ×5, first 2 shown]
	v_add3_u32 v11, 0, v45, v43
	ds_store_2addr_b64 v11, v[1:2], v[3:4] offset1:17
	ds_store_2addr_b64 v11, v[5:6], v[7:8] offset0:34 offset1:51
	s_wait_loadcnt 0xb
	ds_store_2addr_b64 v11, v[12:13], v[9:10] offset0:68 offset1:85
	s_wait_loadcnt 0x9
	;; [unrolled: 2-line block ×7, first 2 shown]
	ds_store_b64 v11, v[54:55] offset:2176
.LBB0_14:
	s_or_b32 exec_lo, exec_lo, s25
	s_wait_kmcnt 0x0
	s_mov_b32 s0, 0x92481000
	s_movk_i32 s1, 0x64
	s_mov_b32 s25, s24
	v_and_b32_e32 v1, 0xffff, v0
	s_wait_alu 0xfffe
	s_add_nc_u64 s[0:1], s[24:25], s[0:1]
	s_mov_b32 s15, s24
	s_wait_alu 0xfffe
	s_add_co_i32 s1, s1, 0x249248c0
	s_wait_alu 0xfffe
	s_mul_u64 s[8:9], s[0:1], -7
	v_mul_u32_u24_e32 v1, 0xf10, v1
	s_wait_alu 0xfffe
	s_mul_hi_u32 s11, s0, s9
	s_mul_i32 s10, s0, s9
	s_mul_hi_u32 s14, s0, s8
	s_mul_hi_u32 s25, s1, s8
	s_mul_i32 s8, s1, s8
	s_wait_alu 0xfffe
	s_add_nc_u64 s[10:11], s[14:15], s[10:11]
	s_mul_hi_u32 s14, s1, s9
	s_wait_alu 0xfffe
	s_add_co_u32 s8, s10, s8
	s_add_co_ci_u32 s8, s11, s25
	s_add_co_ci_u32 s11, s14, 0
	s_mul_i32 s10, s1, s9
	s_mov_b32 s9, s24
	v_lshrrev_b32_e32 v5, 16, v1
	s_wait_alu 0xfffe
	s_add_nc_u64 s[8:9], s[8:9], s[10:11]
	s_wait_alu 0xfffe
	v_add_co_u32 v3, s0, s0, s8
	s_delay_alu instid0(VALU_DEP_1) | instskip(SKIP_4) | instid1(VALU_DEP_2)
	s_cmp_lg_u32 s0, 0
	v_add_co_u32 v6, s0, s22, v5
	s_wait_alu 0xf1ff
	v_add_co_ci_u32_e64 v7, null, s23, 0, s0
	s_add_co_ci_u32 s0, s1, s9
	v_mul_hi_u32 v8, v6, v3
	s_wait_alu 0xfffe
	v_mad_co_u64_u32 v[1:2], null, v6, s0, 0
	v_mad_co_u64_u32 v[3:4], null, v7, v3, 0
	s_delay_alu instid0(VALU_DEP_2) | instskip(SKIP_1) | instid1(VALU_DEP_3)
	v_add_co_u32 v8, vcc_lo, v8, v1
	s_wait_alu 0xfffd
	v_add_co_ci_u32_e32 v9, vcc_lo, 0, v2, vcc_lo
	v_mad_co_u64_u32 v[1:2], null, v7, s0, 0
	s_delay_alu instid0(VALU_DEP_3) | instskip(SKIP_1) | instid1(VALU_DEP_3)
	v_add_co_u32 v3, vcc_lo, v8, v3
	s_wait_alu 0xfffd
	v_add_co_ci_u32_e32 v3, vcc_lo, v9, v4, vcc_lo
	s_load_b64 s[0:1], s[12:13], 0x0
	global_wb scope:SCOPE_SE
	s_wait_dscnt 0x0
	v_add_co_ci_u32_e32 v2, vcc_lo, 0, v2, vcc_lo
	v_add_co_u32 v1, vcc_lo, v3, v1
	s_wait_kmcnt 0x0
	s_barrier_signal -1
	s_wait_alu 0xfffd
	v_add_co_ci_u32_e32 v3, vcc_lo, 0, v2, vcc_lo
	v_mad_co_u64_u32 v[1:2], null, v1, 7, 0
	s_barrier_wait -1
	global_inv scope:SCOPE_SE
	v_mad_co_u64_u32 v[2:3], null, v3, 7, v[2:3]
	v_sub_co_u32 v1, vcc_lo, v6, v1
	s_wait_alu 0xfffd
	s_delay_alu instid0(VALU_DEP_2) | instskip(NEXT) | instid1(VALU_DEP_2)
	v_sub_co_ci_u32_e32 v2, vcc_lo, v7, v2, vcc_lo
	v_sub_co_u32 v3, vcc_lo, v1, 7
	s_wait_alu 0xfffd
	s_delay_alu instid0(VALU_DEP_2) | instskip(NEXT) | instid1(VALU_DEP_2)
	v_subrev_co_ci_u32_e32 v4, vcc_lo, 0, v2, vcc_lo
	v_cmp_lt_u32_e32 vcc_lo, 6, v3
	s_wait_alu 0xfffd
	v_cndmask_b32_e64 v6, 0, -1, vcc_lo
	v_cmp_lt_u32_e32 vcc_lo, 6, v1
	s_wait_alu 0xfffd
	v_cndmask_b32_e64 v7, 0, -1, vcc_lo
	v_cmp_eq_u32_e32 vcc_lo, 0, v4
	s_wait_alu 0xfffd
	v_cndmask_b32_e32 v4, -1, v6, vcc_lo
	v_cmp_eq_u32_e32 vcc_lo, 0, v2
	v_add_nc_u32_e32 v6, -7, v3
	s_wait_alu 0xfffd
	v_cndmask_b32_e32 v2, -1, v7, vcc_lo
	v_cmp_ne_u32_e32 vcc_lo, 0, v4
	v_mul_lo_u16 v4, v5, 17
	s_wait_alu 0xfffd
	v_cndmask_b32_e32 v3, v3, v6, vcc_lo
	v_cmp_ne_u32_e32 vcc_lo, 0, v2
	s_delay_alu instid0(VALU_DEP_3) | instskip(SKIP_1) | instid1(VALU_DEP_1)
	v_sub_nc_u16 v0, v0, v4
	s_wait_alu 0xfffd
	v_dual_cndmask_b32 v1, v1, v3 :: v_dual_and_b32 v48, 0xffff, v0
	s_delay_alu instid0(VALU_DEP_1) | instskip(NEXT) | instid1(VALU_DEP_1)
	v_mul_u32_u24_e32 v1, 0x121, v1
	v_lshlrev_b32_e32 v0, 3, v1
	s_delay_alu instid0(VALU_DEP_3) | instskip(NEXT) | instid1(VALU_DEP_2)
	v_lshlrev_b32_e32 v1, 3, v48
	v_add_nc_u32_e32 v49, 0, v0
	s_delay_alu instid0(VALU_DEP_2) | instskip(NEXT) | instid1(VALU_DEP_2)
	v_add3_u32 v46, 0, v1, v0
	v_add_nc_u32_e32 v47, v49, v1
	s_delay_alu instid0(VALU_DEP_2)
	v_add_nc_u32_e32 v0, 0x400, v46
	ds_load_2addr_b64 v[50:53], v46 offset0:17 offset1:34
	ds_load_b64 v[58:59], v47
	ds_load_2addr_b64 v[54:57], v0 offset0:127 offset1:144
	ds_load_2addr_b64 v[16:19], v46 offset0:51 offset1:68
	;; [unrolled: 1-line block ×7, first 2 shown]
	global_wb scope:SCOPE_SE
	s_wait_dscnt 0x0
	s_barrier_signal -1
	s_barrier_wait -1
	global_inv scope:SCOPE_SE
	v_dual_add_f32 v24, v58, v50 :: v_dual_add_f32 v25, v59, v51
	v_sub_f32_e32 v61, v51, v57
	v_dual_add_f32 v51, v57, v51 :: v_dual_add_f32 v60, v56, v50
	s_delay_alu instid0(VALU_DEP_3) | instskip(SKIP_1) | instid1(VALU_DEP_4)
	v_dual_add_f32 v24, v24, v52 :: v_dual_add_f32 v25, v25, v53
	v_sub_f32_e32 v50, v50, v56
	v_mul_f32_e32 v62, 0xbeb8f4ab, v61
	v_mul_f32_e32 v64, 0xbf2c7751, v61
	s_delay_alu instid0(VALU_DEP_4) | instskip(NEXT) | instid1(VALU_DEP_4)
	v_dual_add_f32 v24, v24, v16 :: v_dual_add_f32 v25, v25, v17
	v_mul_f32_e32 v63, 0xbeb8f4ab, v50
	s_delay_alu instid0(VALU_DEP_4) | instskip(SKIP_1) | instid1(VALU_DEP_4)
	v_fma_f32 v76, 0x3f6eb680, v60, -v62
	v_mul_f32_e32 v65, 0xbf2c7751, v50
	v_dual_add_f32 v24, v24, v18 :: v_dual_add_f32 v25, v25, v19
	s_delay_alu instid0(VALU_DEP_4) | instskip(SKIP_1) | instid1(VALU_DEP_3)
	v_dual_fmamk_f32 v77, v51, 0x3f6eb680, v63 :: v_dual_fmac_f32 v62, 0x3f6eb680, v60
	v_fma_f32 v78, 0x3f3d2fb0, v60, -v64
	v_dual_add_f32 v24, v24, v8 :: v_dual_add_f32 v25, v25, v9
	v_dual_fmamk_f32 v79, v51, 0x3f3d2fb0, v65 :: v_dual_fmac_f32 v64, 0x3f3d2fb0, v60
	s_delay_alu instid0(VALU_DEP_2) | instskip(NEXT) | instid1(VALU_DEP_3)
	v_dual_add_f32 v77, v59, v77 :: v_dual_add_f32 v24, v24, v10
	v_dual_add_f32 v25, v25, v11 :: v_dual_add_f32 v76, v58, v76
	v_dual_mul_f32 v68, 0xbf7ee86f, v61 :: v_dual_mul_f32 v69, 0xbf7ee86f, v50
	s_delay_alu instid0(VALU_DEP_2) | instskip(SKIP_1) | instid1(VALU_DEP_3)
	v_dual_add_f32 v24, v24, v0 :: v_dual_add_f32 v25, v25, v1
	v_fma_f32 v65, 0x3f3d2fb0, v51, -v65
	v_fma_f32 v82, 0x3dbcf732, v60, -v68
	v_dual_mul_f32 v70, 0xbf763a35, v61 :: v_dual_mul_f32 v71, 0xbf763a35, v50
	s_delay_alu instid0(VALU_DEP_4) | instskip(NEXT) | instid1(VALU_DEP_4)
	v_dual_add_f32 v24, v24, v2 :: v_dual_add_f32 v25, v25, v3
	v_dual_add_f32 v64, v58, v64 :: v_dual_add_f32 v65, v59, v65
	v_dual_fmamk_f32 v83, v51, 0x3dbcf732, v69 :: v_dual_fmac_f32 v68, 0x3dbcf732, v60
	s_delay_alu instid0(VALU_DEP_3) | instskip(SKIP_2) | instid1(VALU_DEP_3)
	v_dual_add_f32 v24, v24, v4 :: v_dual_add_f32 v25, v25, v5
	v_fma_f32 v84, 0xbe8c1d8e, v60, -v70
	v_dual_fmamk_f32 v85, v51, 0xbe8c1d8e, v71 :: v_dual_fmac_f32 v70, 0xbe8c1d8e, v60
	v_dual_add_f32 v24, v24, v6 :: v_dual_add_f32 v25, v25, v7
	v_dual_add_f32 v82, v58, v82 :: v_dual_add_f32 v83, v59, v83
	v_dual_mul_f32 v74, 0xbf06c442, v61 :: v_dual_mul_f32 v75, 0xbf06c442, v50
	s_delay_alu instid0(VALU_DEP_3) | instskip(SKIP_2) | instid1(VALU_DEP_3)
	v_dual_add_f32 v24, v24, v12 :: v_dual_add_f32 v25, v25, v13
	v_fma_f32 v71, 0xbe8c1d8e, v51, -v71
	v_dual_mul_f32 v66, 0xbf65296c, v61 :: v_dual_mul_f32 v67, 0xbf65296c, v50
	v_dual_add_f32 v24, v24, v14 :: v_dual_add_f32 v25, v25, v15
	v_add_f32_e32 v70, v58, v70
	v_dual_mul_f32 v72, 0xbf4c4adb, v61 :: v_dual_mul_f32 v73, 0xbf4c4adb, v50
	s_delay_alu instid0(VALU_DEP_3) | instskip(NEXT) | instid1(VALU_DEP_4)
	v_dual_add_f32 v24, v24, v20 :: v_dual_add_f32 v71, v59, v71
	v_add_f32_e32 v25, v25, v21
	v_dual_mul_f32 v61, 0xbe3c28d5, v61 :: v_dual_mul_f32 v50, 0xbe3c28d5, v50
	v_fma_f32 v88, 0xbf59a7d5, v60, -v74
	s_delay_alu instid0(VALU_DEP_3) | instskip(SKIP_1) | instid1(VALU_DEP_4)
	v_dual_add_f32 v24, v24, v22 :: v_dual_add_f32 v25, v25, v23
	v_dual_fmamk_f32 v89, v51, 0xbf59a7d5, v75 :: v_dual_fmac_f32 v74, 0xbf59a7d5, v60
	v_fma_f32 v90, 0xbf7ba420, v60, -v61
	s_delay_alu instid0(VALU_DEP_3) | instskip(NEXT) | instid1(VALU_DEP_3)
	v_dual_add_f32 v88, v58, v88 :: v_dual_add_f32 v25, v25, v55
	v_dual_add_f32 v24, v24, v54 :: v_dual_add_f32 v89, v59, v89
	v_fma_f32 v80, 0x3ee437d1, v60, -v66
	v_dual_fmamk_f32 v81, v51, 0x3ee437d1, v67 :: v_dual_fmac_f32 v66, 0x3ee437d1, v60
	v_fma_f32 v86, 0xbf1a4643, v60, -v72
	v_dual_fmamk_f32 v87, v51, 0xbf1a4643, v73 :: v_dual_fmac_f32 v72, 0xbf1a4643, v60
	v_dual_add_f32 v24, v24, v56 :: v_dual_add_f32 v25, v25, v57
	v_dual_add_f32 v56, v58, v90 :: v_dual_sub_f32 v57, v53, v55
	v_dual_fmamk_f32 v90, v51, 0xbf7ba420, v50 :: v_dual_fmac_f32 v61, 0xbf7ba420, v60
	v_sub_f32_e32 v60, v52, v54
	v_fma_f32 v63, 0x3f6eb680, v51, -v63
	v_fma_f32 v67, 0x3ee437d1, v51, -v67
	;; [unrolled: 1-line block ×5, first 2 shown]
	v_add_f32_e32 v52, v54, v52
	v_mul_f32_e32 v54, 0xbf2c7751, v57
	v_fma_f32 v50, 0xbf7ba420, v51, -v50
	v_add_f32_e32 v51, v55, v53
	v_dual_mul_f32 v53, 0xbf2c7751, v60 :: v_dual_add_f32 v62, v58, v62
	v_dual_add_f32 v63, v59, v63 :: v_dual_add_f32 v78, v58, v78
	v_dual_add_f32 v79, v59, v79 :: v_dual_add_f32 v80, v58, v80
	v_dual_add_f32 v81, v59, v81 :: v_dual_add_f32 v66, v58, v66
	v_dual_add_f32 v67, v59, v67 :: v_dual_add_f32 v68, v58, v68
	v_dual_add_f32 v69, v59, v69 :: v_dual_add_f32 v84, v58, v84
	v_dual_add_f32 v85, v59, v85 :: v_dual_add_f32 v86, v58, v86
	v_dual_add_f32 v87, v59, v87 :: v_dual_add_f32 v72, v58, v72
	v_dual_add_f32 v73, v59, v73 :: v_dual_add_f32 v74, v58, v74
	v_add_f32_e32 v75, v59, v75
	v_add_f32_e32 v55, v59, v90
	v_fma_f32 v90, 0x3f3d2fb0, v52, -v54
	v_add_f32_e32 v58, v58, v61
	v_dual_add_f32 v50, v59, v50 :: v_dual_mul_f32 v61, 0xbf7ee86f, v57
	s_delay_alu instid0(VALU_DEP_3) | instskip(SKIP_3) | instid1(VALU_DEP_4)
	v_dual_fmamk_f32 v59, v51, 0x3f3d2fb0, v53 :: v_dual_add_f32 v76, v90, v76
	v_fma_f32 v53, 0x3f3d2fb0, v51, -v53
	v_fmac_f32_e32 v54, 0x3f3d2fb0, v52
	v_mul_f32_e32 v91, 0xbf4c4adb, v60
	v_add_f32_e32 v59, v59, v77
	v_fma_f32 v77, 0x3dbcf732, v52, -v61
	v_dual_add_f32 v53, v53, v63 :: v_dual_mul_f32 v90, 0xbf7ee86f, v60
	v_add_f32_e32 v54, v54, v62
	s_delay_alu instid0(VALU_DEP_3) | instskip(SKIP_1) | instid1(VALU_DEP_4)
	v_dual_mul_f32 v62, 0xbf4c4adb, v57 :: v_dual_add_f32 v63, v77, v78
	v_mad_u32_u24 v49, 0x88, v48, v49
	v_fmamk_f32 v77, v51, 0x3dbcf732, v90
	v_fma_f32 v78, 0x3dbcf732, v51, -v90
	v_fmac_f32_e32 v61, 0x3dbcf732, v52
	v_fma_f32 v90, 0xbf1a4643, v52, -v62
	s_delay_alu instid0(VALU_DEP_4) | instskip(SKIP_1) | instid1(VALU_DEP_4)
	v_add_f32_e32 v77, v77, v79
	v_mul_f32_e32 v79, 0xbe3c28d5, v57
	v_dual_add_f32 v61, v61, v64 :: v_dual_add_f32 v64, v78, v65
	s_delay_alu instid0(VALU_DEP_4) | instskip(SKIP_2) | instid1(VALU_DEP_3)
	v_dual_fmamk_f32 v78, v51, 0xbf1a4643, v91 :: v_dual_add_f32 v65, v90, v80
	v_fma_f32 v80, 0xbf1a4643, v51, -v91
	v_mul_f32_e32 v90, 0xbe3c28d5, v60
	v_dual_mul_f32 v91, 0x3f763a35, v60 :: v_dual_add_f32 v78, v78, v81
	v_fma_f32 v81, 0xbf7ba420, v52, -v79
	s_delay_alu instid0(VALU_DEP_1) | instskip(NEXT) | instid1(VALU_DEP_1)
	v_dual_fmac_f32 v62, 0xbf1a4643, v52 :: v_dual_add_f32 v81, v81, v82
	v_add_f32_e32 v62, v62, v66
	v_dual_add_f32 v66, v80, v67 :: v_dual_fmamk_f32 v67, v51, 0xbf7ba420, v90
	v_mul_f32_e32 v80, 0x3f06c442, v57
	v_fma_f32 v82, 0xbf7ba420, v51, -v90
	s_delay_alu instid0(VALU_DEP_3) | instskip(NEXT) | instid1(VALU_DEP_3)
	v_dual_mul_f32 v90, 0x3f06c442, v60 :: v_dual_add_f32 v67, v67, v83
	v_fma_f32 v83, 0xbf59a7d5, v52, -v80
	s_delay_alu instid0(VALU_DEP_1) | instskip(NEXT) | instid1(VALU_DEP_3)
	v_dual_add_f32 v69, v82, v69 :: v_dual_add_f32 v82, v83, v84
	v_fmamk_f32 v83, v51, 0xbf59a7d5, v90
	v_fmac_f32_e32 v80, 0xbf59a7d5, v52
	v_fmac_f32_e32 v79, 0xbf7ba420, v52
	v_fma_f32 v84, 0xbf59a7d5, v51, -v90
	s_delay_alu instid0(VALU_DEP_3) | instskip(NEXT) | instid1(VALU_DEP_3)
	v_add_f32_e32 v70, v80, v70
	v_dual_add_f32 v68, v79, v68 :: v_dual_mul_f32 v79, 0x3f763a35, v57
	s_delay_alu instid0(VALU_DEP_3) | instskip(NEXT) | instid1(VALU_DEP_2)
	v_dual_add_f32 v71, v84, v71 :: v_dual_fmamk_f32 v84, v51, 0xbe8c1d8e, v91
	v_fma_f32 v90, 0xbe8c1d8e, v52, -v79
	s_delay_alu instid0(VALU_DEP_2) | instskip(NEXT) | instid1(VALU_DEP_2)
	v_add_f32_e32 v84, v84, v87
	v_dual_add_f32 v80, v90, v86 :: v_dual_add_f32 v83, v83, v85
	v_dual_mul_f32 v85, 0x3f65296c, v57 :: v_dual_mul_f32 v86, 0x3f65296c, v60
	v_dual_mul_f32 v57, 0x3eb8f4ab, v57 :: v_dual_mul_f32 v60, 0x3eb8f4ab, v60
	v_fma_f32 v90, 0xbe8c1d8e, v51, -v91
	s_delay_alu instid0(VALU_DEP_3) | instskip(SKIP_2) | instid1(VALU_DEP_4)
	v_fma_f32 v87, 0x3ee437d1, v52, -v85
	v_fmac_f32_e32 v85, 0x3ee437d1, v52
	v_fmac_f32_e32 v79, 0xbe8c1d8e, v52
	v_add_f32_e32 v73, v90, v73
	s_delay_alu instid0(VALU_DEP_3) | instskip(NEXT) | instid1(VALU_DEP_3)
	v_dual_add_f32 v87, v87, v88 :: v_dual_add_f32 v74, v85, v74
	v_add_f32_e32 v72, v79, v72
	v_fma_f32 v88, 0x3f6eb680, v52, -v57
	v_fmamk_f32 v79, v51, 0x3ee437d1, v86
	v_fma_f32 v86, 0x3ee437d1, v51, -v86
	v_sub_f32_e32 v85, v17, v23
	s_delay_alu instid0(VALU_DEP_4) | instskip(NEXT) | instid1(VALU_DEP_4)
	v_dual_add_f32 v17, v23, v17 :: v_dual_add_f32 v56, v88, v56
	v_add_f32_e32 v79, v79, v89
	s_delay_alu instid0(VALU_DEP_4) | instskip(NEXT) | instid1(VALU_DEP_4)
	v_dual_add_f32 v75, v86, v75 :: v_dual_fmamk_f32 v86, v51, 0x3f6eb680, v60
	v_dual_add_f32 v88, v22, v16 :: v_dual_mul_f32 v89, 0xbf65296c, v85
	v_sub_f32_e32 v16, v16, v22
	v_fma_f32 v22, 0x3f6eb680, v51, -v60
	s_delay_alu instid0(VALU_DEP_4) | instskip(NEXT) | instid1(VALU_DEP_4)
	v_dual_fmac_f32 v57, 0x3f6eb680, v52 :: v_dual_add_f32 v52, v86, v55
	v_fma_f32 v23, 0x3ee437d1, v88, -v89
	s_delay_alu instid0(VALU_DEP_3) | instskip(NEXT) | instid1(VALU_DEP_3)
	v_dual_mul_f32 v51, 0xbf65296c, v16 :: v_dual_add_f32 v22, v22, v50
	v_dual_add_f32 v55, v57, v58 :: v_dual_mul_f32 v60, 0x3e3c28d5, v85
	v_mul_f32_e32 v58, 0xbf4c4adb, v16
	s_delay_alu instid0(VALU_DEP_3) | instskip(SKIP_3) | instid1(VALU_DEP_4)
	v_fmamk_f32 v50, v17, 0x3ee437d1, v51
	v_fmac_f32_e32 v89, 0x3ee437d1, v88
	v_add_f32_e32 v23, v23, v76
	v_mul_f32_e32 v76, 0x3e3c28d5, v16
	v_add_f32_e32 v50, v50, v59
	v_fma_f32 v51, 0x3ee437d1, v17, -v51
	s_delay_alu instid0(VALU_DEP_1) | instskip(SKIP_2) | instid1(VALU_DEP_1)
	v_add_f32_e32 v51, v51, v53
	v_fmamk_f32 v53, v17, 0xbf1a4643, v58
	v_fma_f32 v58, 0xbf1a4643, v17, -v58
	v_dual_mul_f32 v57, 0xbf4c4adb, v85 :: v_dual_add_f32 v58, v58, v64
	s_delay_alu instid0(VALU_DEP_1) | instskip(NEXT) | instid1(VALU_DEP_1)
	v_fma_f32 v59, 0xbf1a4643, v88, -v57
	v_dual_fmamk_f32 v64, v17, 0xbf7ba420, v76 :: v_dual_add_f32 v59, v59, v63
	v_fma_f32 v63, 0xbf7ba420, v88, -v60
	v_fmac_f32_e32 v60, 0xbf7ba420, v88
	s_delay_alu instid0(VALU_DEP_3) | instskip(SKIP_1) | instid1(VALU_DEP_4)
	v_add_f32_e32 v64, v64, v78
	v_mul_f32_e32 v78, 0x3f2c7751, v16
	v_dual_add_f32 v54, v89, v54 :: v_dual_add_f32 v63, v63, v65
	v_fma_f32 v65, 0xbf7ba420, v17, -v76
	v_dual_fmac_f32 v57, 0xbf1a4643, v88 :: v_dual_add_f32 v60, v60, v62
	v_add_f32_e32 v53, v53, v77
	s_delay_alu instid0(VALU_DEP_3) | instskip(NEXT) | instid1(VALU_DEP_1)
	v_dual_mul_f32 v77, 0x3f763a35, v16 :: v_dual_add_f32 v62, v65, v66
	v_fmamk_f32 v66, v17, 0xbe8c1d8e, v77
	s_delay_alu instid0(VALU_DEP_4) | instskip(SKIP_2) | instid1(VALU_DEP_4)
	v_add_f32_e32 v57, v57, v61
	v_mul_f32_e32 v61, 0x3f763a35, v85
	v_fma_f32 v77, 0xbe8c1d8e, v17, -v77
	v_add_f32_e32 v66, v66, v67
	s_delay_alu instid0(VALU_DEP_3) | instskip(NEXT) | instid1(VALU_DEP_1)
	v_fma_f32 v76, 0xbe8c1d8e, v88, -v61
	v_add_f32_e32 v65, v76, v81
	v_mul_f32_e32 v76, 0x3f2c7751, v85
	s_delay_alu instid0(VALU_DEP_1) | instskip(NEXT) | instid1(VALU_DEP_1)
	v_fma_f32 v67, 0x3f3d2fb0, v88, -v76
	v_dual_fmac_f32 v76, 0x3f3d2fb0, v88 :: v_dual_add_f32 v67, v67, v82
	s_delay_alu instid0(VALU_DEP_1) | instskip(SKIP_1) | instid1(VALU_DEP_2)
	v_dual_add_f32 v70, v76, v70 :: v_dual_fmac_f32 v61, 0xbe8c1d8e, v88
	v_mul_f32_e32 v82, 0xbeb8f4ab, v16
	v_dual_mul_f32 v76, 0xbf7ee86f, v85 :: v_dual_add_f32 v61, v61, v68
	v_add_f32_e32 v68, v77, v69
	v_mul_f32_e32 v77, 0xbeb8f4ab, v85
	v_fmamk_f32 v69, v17, 0x3f3d2fb0, v78
	v_fma_f32 v78, 0x3f3d2fb0, v17, -v78
	s_delay_alu instid0(VALU_DEP_3) | instskip(SKIP_1) | instid1(VALU_DEP_2)
	v_fma_f32 v81, 0x3f6eb680, v88, -v77
	v_fmac_f32_e32 v77, 0x3f6eb680, v88
	v_dual_add_f32 v71, v78, v71 :: v_dual_add_f32 v78, v81, v80
	v_fmamk_f32 v80, v17, 0x3f6eb680, v82
	v_fma_f32 v81, 0x3f6eb680, v17, -v82
	v_fma_f32 v82, 0x3dbcf732, v88, -v76
	v_fmac_f32_e32 v76, 0x3dbcf732, v88
	v_add_f32_e32 v72, v77, v72
	v_dual_add_f32 v80, v80, v84 :: v_dual_add_f32 v69, v69, v83
	v_mul_f32_e32 v83, 0xbf7ee86f, v16
	v_dual_add_f32 v73, v81, v73 :: v_dual_mul_f32 v16, 0xbf06c442, v16
	v_dual_add_f32 v77, v82, v87 :: v_dual_add_f32 v74, v76, v74
	v_sub_f32_e32 v76, v19, v21
	s_delay_alu instid0(VALU_DEP_3) | instskip(SKIP_3) | instid1(VALU_DEP_4)
	v_fmamk_f32 v84, v17, 0xbf59a7d5, v16
	v_fmamk_f32 v81, v17, 0x3dbcf732, v83
	v_fma_f32 v83, 0x3dbcf732, v17, -v83
	v_fma_f32 v16, 0xbf59a7d5, v17, -v16
	v_dual_add_f32 v17, v21, v19 :: v_dual_add_f32 v52, v84, v52
	s_delay_alu instid0(VALU_DEP_4) | instskip(NEXT) | instid1(VALU_DEP_4)
	v_dual_mul_f32 v82, 0xbf06c442, v85 :: v_dual_add_f32 v79, v81, v79
	v_add_f32_e32 v75, v83, v75
	s_delay_alu instid0(VALU_DEP_2) | instskip(SKIP_1) | instid1(VALU_DEP_2)
	v_fma_f32 v81, 0xbf59a7d5, v88, -v82
	v_fmac_f32_e32 v82, 0xbf59a7d5, v88
	v_dual_add_f32 v56, v81, v56 :: v_dual_add_f32 v81, v20, v18
	v_sub_f32_e32 v18, v18, v20
	s_delay_alu instid0(VALU_DEP_3) | instskip(NEXT) | instid1(VALU_DEP_2)
	v_dual_mul_f32 v20, 0xbf7ee86f, v76 :: v_dual_add_f32 v55, v82, v55
	v_mul_f32_e32 v19, 0xbf7ee86f, v18
	s_delay_alu instid0(VALU_DEP_2) | instskip(SKIP_1) | instid1(VALU_DEP_3)
	v_fma_f32 v21, 0x3dbcf732, v81, -v20
	v_fmac_f32_e32 v20, 0x3dbcf732, v81
	v_fmamk_f32 v82, v17, 0x3dbcf732, v19
	v_fma_f32 v19, 0x3dbcf732, v17, -v19
	v_add_f32_e32 v16, v16, v22
	v_dual_mul_f32 v22, 0xbe3c28d5, v76 :: v_dual_add_f32 v21, v21, v23
	s_delay_alu instid0(VALU_DEP_3) | instskip(SKIP_1) | instid1(VALU_DEP_3)
	v_dual_add_f32 v50, v82, v50 :: v_dual_add_f32 v19, v19, v51
	v_mul_f32_e32 v51, 0x3f763a35, v76
	v_fma_f32 v23, 0xbf7ba420, v81, -v22
	v_add_f32_e32 v20, v20, v54
	s_delay_alu instid0(VALU_DEP_3) | instskip(SKIP_1) | instid1(VALU_DEP_4)
	v_fma_f32 v83, 0xbe8c1d8e, v81, -v51
	v_fmac_f32_e32 v51, 0xbe8c1d8e, v81
	v_dual_mul_f32 v82, 0xbe3c28d5, v18 :: v_dual_add_f32 v23, v23, v59
	s_delay_alu instid0(VALU_DEP_2) | instskip(NEXT) | instid1(VALU_DEP_2)
	v_dual_fmac_f32 v22, 0xbf7ba420, v81 :: v_dual_add_f32 v51, v51, v60
	v_fmamk_f32 v54, v17, 0xbf7ba420, v82
	v_fma_f32 v59, 0xbf7ba420, v17, -v82
	v_mul_f32_e32 v82, 0x3f763a35, v18
	s_delay_alu instid0(VALU_DEP_4) | instskip(NEXT) | instid1(VALU_DEP_4)
	v_add_f32_e32 v22, v22, v57
	v_add_f32_e32 v53, v54, v53
	s_delay_alu instid0(VALU_DEP_3) | instskip(NEXT) | instid1(VALU_DEP_1)
	v_fmamk_f32 v57, v17, 0xbe8c1d8e, v82
	v_dual_add_f32 v57, v57, v64 :: v_dual_mul_f32 v64, 0x3eb8f4ab, v18
	v_dual_add_f32 v54, v59, v58 :: v_dual_mul_f32 v59, 0x3eb8f4ab, v76
	v_add_f32_e32 v58, v83, v63
	v_fma_f32 v63, 0xbe8c1d8e, v17, -v82
	s_delay_alu instid0(VALU_DEP_3) | instskip(NEXT) | instid1(VALU_DEP_2)
	v_fma_f32 v82, 0x3f6eb680, v81, -v59
	v_dual_fmac_f32 v59, 0x3f6eb680, v81 :: v_dual_add_f32 v60, v63, v62
	v_mul_f32_e32 v62, 0xbf65296c, v76
	v_fmamk_f32 v63, v17, 0x3f6eb680, v64
	s_delay_alu instid0(VALU_DEP_4) | instskip(SKIP_4) | instid1(VALU_DEP_4)
	v_add_f32_e32 v65, v82, v65
	v_fma_f32 v64, 0x3f6eb680, v17, -v64
	v_add_f32_e32 v59, v59, v61
	v_fma_f32 v82, 0x3ee437d1, v81, -v62
	v_add_f32_e32 v63, v63, v66
	v_dual_mul_f32 v66, 0xbf65296c, v18 :: v_dual_add_f32 v61, v64, v68
	v_fmac_f32_e32 v62, 0x3ee437d1, v81
	s_delay_alu instid0(VALU_DEP_4) | instskip(SKIP_1) | instid1(VALU_DEP_3)
	v_dual_add_f32 v64, v82, v67 :: v_dual_mul_f32 v67, 0xbf06c442, v76
	v_mul_f32_e32 v82, 0xbf06c442, v18
	v_add_f32_e32 v62, v62, v70
	s_delay_alu instid0(VALU_DEP_3) | instskip(SKIP_3) | instid1(VALU_DEP_4)
	v_fma_f32 v83, 0xbf59a7d5, v81, -v67
	v_fmac_f32_e32 v67, 0xbf59a7d5, v81
	v_fmamk_f32 v68, v17, 0x3ee437d1, v66
	v_fma_f32 v66, 0x3ee437d1, v17, -v66
	v_add_f32_e32 v70, v83, v78
	s_delay_alu instid0(VALU_DEP_3) | instskip(NEXT) | instid1(VALU_DEP_3)
	v_dual_add_f32 v67, v67, v72 :: v_dual_add_f32 v68, v68, v69
	v_dual_fmamk_f32 v69, v17, 0xbf59a7d5, v82 :: v_dual_add_f32 v66, v66, v71
	v_mul_f32_e32 v71, 0x3f4c4adb, v76
	v_fma_f32 v78, 0xbf59a7d5, v17, -v82
	s_delay_alu instid0(VALU_DEP_3) | instskip(NEXT) | instid1(VALU_DEP_3)
	v_dual_add_f32 v69, v69, v80 :: v_dual_mul_f32 v80, 0x3f4c4adb, v18
	v_fma_f32 v82, 0xbf1a4643, v81, -v71
	s_delay_alu instid0(VALU_DEP_3) | instskip(SKIP_4) | instid1(VALU_DEP_2)
	v_add_f32_e32 v72, v78, v73
	v_fmac_f32_e32 v71, 0xbf1a4643, v81
	v_mul_f32_e32 v73, 0x3f2c7751, v76
	v_fma_f32 v78, 0xbf1a4643, v17, -v80
	v_add_f32_e32 v77, v82, v77
	v_dual_add_f32 v71, v71, v74 :: v_dual_add_f32 v74, v78, v75
	v_sub_f32_e32 v75, v9, v15
	v_dual_add_f32 v9, v15, v9 :: v_dual_fmamk_f32 v76, v17, 0xbf1a4643, v80
	v_fma_f32 v80, 0x3f3d2fb0, v81, -v73
	v_fmac_f32_e32 v73, 0x3f3d2fb0, v81
	v_mul_f32_e32 v18, 0x3f2c7751, v18
	s_delay_alu instid0(VALU_DEP_4) | instskip(SKIP_1) | instid1(VALU_DEP_4)
	v_add_f32_e32 v76, v76, v79
	v_sub_f32_e32 v79, v8, v14
	v_dual_add_f32 v55, v73, v55 :: v_dual_add_f32 v56, v80, v56
	s_delay_alu instid0(VALU_DEP_4) | instskip(SKIP_1) | instid1(VALU_DEP_4)
	v_fmamk_f32 v78, v17, 0x3f3d2fb0, v18
	v_fma_f32 v17, 0x3f3d2fb0, v17, -v18
	v_dual_mul_f32 v15, 0xbf763a35, v79 :: v_dual_add_f32 v8, v14, v8
	s_delay_alu instid0(VALU_DEP_2) | instskip(NEXT) | instid1(VALU_DEP_2)
	v_dual_mul_f32 v73, 0x3f06c442, v75 :: v_dual_add_f32 v16, v17, v16
	v_fmamk_f32 v17, v9, 0xbe8c1d8e, v15
	v_mul_f32_e32 v14, 0xbf763a35, v75
	v_fma_f32 v15, 0xbe8c1d8e, v9, -v15
	s_delay_alu instid0(VALU_DEP_3) | instskip(SKIP_1) | instid1(VALU_DEP_3)
	v_add_f32_e32 v17, v17, v50
	v_fma_f32 v50, 0xbf59a7d5, v8, -v73
	v_dual_add_f32 v15, v15, v19 :: v_dual_add_f32 v18, v78, v52
	v_fma_f32 v52, 0xbe8c1d8e, v8, -v14
	v_fmac_f32_e32 v14, 0xbe8c1d8e, v8
	v_mul_f32_e32 v78, 0x3f2c7751, v79
	v_mul_f32_e32 v19, 0x3f2c7751, v75
	v_fmac_f32_e32 v73, 0xbf59a7d5, v8
	v_dual_add_f32 v21, v52, v21 :: v_dual_mul_f32 v52, 0x3f06c442, v79
	v_add_f32_e32 v14, v14, v20
	v_add_f32_e32 v20, v50, v23
	s_delay_alu instid0(VALU_DEP_4) | instskip(NEXT) | instid1(VALU_DEP_4)
	v_dual_add_f32 v22, v73, v22 :: v_dual_mul_f32 v73, 0xbf65296c, v79
	v_fmamk_f32 v23, v9, 0xbf59a7d5, v52
	s_delay_alu instid0(VALU_DEP_1) | instskip(SKIP_1) | instid1(VALU_DEP_1)
	v_add_f32_e32 v23, v23, v53
	v_fmamk_f32 v53, v9, 0x3f3d2fb0, v78
	v_add_f32_e32 v53, v53, v57
	v_fma_f32 v50, 0xbf59a7d5, v9, -v52
	v_fma_f32 v52, 0x3f3d2fb0, v8, -v19
	s_delay_alu instid0(VALU_DEP_2) | instskip(SKIP_1) | instid1(VALU_DEP_2)
	v_dual_fmac_f32 v19, 0x3f3d2fb0, v8 :: v_dual_add_f32 v50, v50, v54
	v_mul_f32_e32 v54, 0xbf65296c, v75
	v_dual_add_f32 v52, v52, v58 :: v_dual_add_f32 v19, v19, v51
	v_fma_f32 v58, 0x3f3d2fb0, v9, -v78
	v_mul_f32_e32 v78, 0x3f7ee86f, v79
	s_delay_alu instid0(VALU_DEP_4) | instskip(NEXT) | instid1(VALU_DEP_3)
	v_fma_f32 v57, 0x3ee437d1, v8, -v54
	v_dual_add_f32 v51, v58, v60 :: v_dual_fmamk_f32 v58, v9, 0x3ee437d1, v73
	s_delay_alu instid0(VALU_DEP_2) | instskip(SKIP_2) | instid1(VALU_DEP_4)
	v_dual_add_f32 v57, v57, v65 :: v_dual_fmac_f32 v54, 0x3ee437d1, v8
	v_fma_f32 v65, 0x3ee437d1, v9, -v73
	v_mul_f32_e32 v60, 0xbe3c28d5, v75
	v_add_f32_e32 v58, v58, v63
	v_mul_f32_e32 v73, 0xbe3c28d5, v79
	s_delay_alu instid0(VALU_DEP_4) | instskip(NEXT) | instid1(VALU_DEP_4)
	v_dual_add_f32 v54, v54, v59 :: v_dual_add_f32 v59, v65, v61
	v_fma_f32 v63, 0xbf7ba420, v8, -v60
	v_fmac_f32_e32 v60, 0xbf7ba420, v8
	v_mul_f32_e32 v61, 0x3f7ee86f, v75
	s_delay_alu instid0(VALU_DEP_2) | instskip(SKIP_1) | instid1(VALU_DEP_1)
	v_dual_add_f32 v63, v63, v64 :: v_dual_add_f32 v60, v60, v62
	v_fmamk_f32 v64, v9, 0xbf7ba420, v73
	v_add_f32_e32 v64, v64, v68
	v_fma_f32 v65, 0xbf7ba420, v9, -v73
	v_fma_f32 v73, 0x3dbcf732, v8, -v61
	v_mul_f32_e32 v68, 0xbeb8f4ab, v75
	s_delay_alu instid0(VALU_DEP_3) | instskip(SKIP_1) | instid1(VALU_DEP_4)
	v_dual_fmac_f32 v61, 0x3dbcf732, v8 :: v_dual_add_f32 v62, v65, v66
	v_fmamk_f32 v66, v9, 0x3dbcf732, v78
	v_dual_add_f32 v65, v73, v70 :: v_dual_mul_f32 v70, 0xbeb8f4ab, v79
	s_delay_alu instid0(VALU_DEP_2) | instskip(SKIP_1) | instid1(VALU_DEP_3)
	v_dual_add_f32 v61, v61, v67 :: v_dual_add_f32 v66, v66, v69
	v_fma_f32 v69, 0x3f6eb680, v8, -v68
	v_fmamk_f32 v67, v9, 0x3f6eb680, v70
	v_fma_f32 v70, 0x3f6eb680, v9, -v70
	s_delay_alu instid0(VALU_DEP_3) | instskip(SKIP_1) | instid1(VALU_DEP_4)
	v_add_f32_e32 v69, v69, v77
	v_fma_f32 v73, 0x3dbcf732, v9, -v78
	v_dual_add_f32 v67, v67, v76 :: v_dual_mul_f32 v76, 0xbf4c4adb, v79
	s_delay_alu instid0(VALU_DEP_2) | instskip(SKIP_1) | instid1(VALU_DEP_2)
	v_dual_add_f32 v72, v73, v72 :: v_dual_mul_f32 v73, 0xbf4c4adb, v75
	v_add_f32_e32 v70, v70, v74
	v_fma_f32 v75, 0xbf1a4643, v8, -v73
	v_fmac_f32_e32 v73, 0xbf1a4643, v8
	s_delay_alu instid0(VALU_DEP_2) | instskip(SKIP_4) | instid1(VALU_DEP_4)
	v_dual_add_f32 v56, v75, v56 :: v_dual_add_f32 v75, v12, v10
	v_fmac_f32_e32 v68, 0x3f6eb680, v8
	v_fmamk_f32 v74, v9, 0xbf1a4643, v76
	v_fma_f32 v8, 0xbf1a4643, v9, -v76
	v_dual_add_f32 v9, v13, v11 :: v_dual_sub_f32 v10, v10, v12
	v_dual_add_f32 v68, v68, v71 :: v_dual_sub_f32 v71, v11, v13
	s_delay_alu instid0(VALU_DEP_3) | instskip(NEXT) | instid1(VALU_DEP_2)
	v_add_f32_e32 v8, v8, v16
	v_dual_mul_f32 v12, 0xbf4c4adb, v10 :: v_dual_mul_f32 v77, 0xbf4c4adb, v71
	s_delay_alu instid0(VALU_DEP_1) | instskip(NEXT) | instid1(VALU_DEP_2)
	v_fmamk_f32 v16, v9, 0xbf1a4643, v12
	v_fma_f32 v11, 0xbf1a4643, v75, -v77
	v_fmac_f32_e32 v77, 0xbf1a4643, v75
	v_dual_add_f32 v13, v74, v18 :: v_dual_add_f32 v18, v73, v55
	v_mul_f32_e32 v55, 0x3f763a35, v10
	s_delay_alu instid0(VALU_DEP_4) | instskip(SKIP_2) | instid1(VALU_DEP_2)
	v_add_f32_e32 v11, v11, v21
	v_dual_mul_f32 v21, 0x3f763a35, v71 :: v_dual_add_f32 v16, v16, v17
	v_mul_f32_e32 v73, 0xbeb8f4ab, v71
	v_fma_f32 v17, 0xbe8c1d8e, v75, -v21
	v_fmac_f32_e32 v21, 0xbe8c1d8e, v75
	s_delay_alu instid0(VALU_DEP_2) | instskip(SKIP_2) | instid1(VALU_DEP_2)
	v_add_f32_e32 v17, v17, v20
	v_fma_f32 v12, 0xbf1a4643, v9, -v12
	v_fma_f32 v20, 0xbe8c1d8e, v9, -v55
	v_dual_add_f32 v21, v21, v22 :: v_dual_add_f32 v12, v12, v15
	v_fmamk_f32 v15, v9, 0xbe8c1d8e, v55
	v_mul_f32_e32 v55, 0xbeb8f4ab, v10
	s_delay_alu instid0(VALU_DEP_2) | instskip(SKIP_2) | instid1(VALU_DEP_2)
	v_dual_add_f32 v20, v20, v50 :: v_dual_add_f32 v15, v15, v23
	v_fma_f32 v23, 0x3f6eb680, v75, -v73
	v_dual_fmac_f32 v73, 0x3f6eb680, v75 :: v_dual_add_f32 v14, v77, v14
	v_dual_mul_f32 v74, 0xbf06c442, v10 :: v_dual_add_f32 v23, v23, v52
	s_delay_alu instid0(VALU_DEP_2) | instskip(SKIP_1) | instid1(VALU_DEP_1)
	v_add_f32_e32 v19, v73, v19
	v_fma_f32 v52, 0x3f6eb680, v9, -v55
	v_dual_fmamk_f32 v50, v9, 0x3f6eb680, v55 :: v_dual_add_f32 v51, v52, v51
	s_delay_alu instid0(VALU_DEP_1) | instskip(NEXT) | instid1(VALU_DEP_1)
	v_dual_add_f32 v50, v50, v53 :: v_dual_fmamk_f32 v53, v9, 0xbf59a7d5, v74
	v_dual_mul_f32 v22, 0xbf06c442, v71 :: v_dual_add_f32 v53, v53, v58
	s_delay_alu instid0(VALU_DEP_1) | instskip(SKIP_1) | instid1(VALU_DEP_2)
	v_fma_f32 v55, 0xbf59a7d5, v75, -v22
	v_fmac_f32_e32 v22, 0xbf59a7d5, v75
	v_dual_add_f32 v52, v55, v57 :: v_dual_mul_f32 v55, 0x3f7ee86f, v71
	v_fma_f32 v57, 0xbf59a7d5, v9, -v74
	v_mul_f32_e32 v73, 0x3f7ee86f, v10
	s_delay_alu instid0(VALU_DEP_4) | instskip(NEXT) | instid1(VALU_DEP_4)
	v_add_f32_e32 v22, v22, v54
	v_fma_f32 v58, 0x3dbcf732, v75, -v55
	s_delay_alu instid0(VALU_DEP_4) | instskip(NEXT) | instid1(VALU_DEP_4)
	v_add_f32_e32 v54, v57, v59
	v_fmamk_f32 v57, v9, 0x3dbcf732, v73
	v_fmac_f32_e32 v55, 0x3dbcf732, v75
	s_delay_alu instid0(VALU_DEP_4)
	v_add_f32_e32 v58, v58, v63
	v_fma_f32 v63, 0x3dbcf732, v9, -v73
	v_mul_f32_e32 v73, 0xbf2c7751, v10
	v_mul_f32_e32 v59, 0xbf2c7751, v71
	v_add_f32_e32 v57, v57, v64
	v_add_f32_e32 v55, v55, v60
	;; [unrolled: 1-line block ×3, first 2 shown]
	v_mul_f32_e32 v62, 0xbe3c28d5, v71
	v_fma_f32 v64, 0x3f3d2fb0, v75, -v59
	s_delay_alu instid0(VALU_DEP_1) | instskip(SKIP_1) | instid1(VALU_DEP_4)
	v_dual_add_f32 v63, v64, v65 :: v_dual_fmamk_f32 v64, v9, 0x3f3d2fb0, v73
	v_fma_f32 v65, 0x3f3d2fb0, v9, -v73
	v_fma_f32 v73, 0xbf7ba420, v75, -v62
	v_fmac_f32_e32 v62, 0xbf7ba420, v75
	s_delay_alu instid0(VALU_DEP_4) | instskip(NEXT) | instid1(VALU_DEP_2)
	v_dual_fmac_f32 v59, 0x3f3d2fb0, v75 :: v_dual_add_f32 v64, v64, v66
	v_add_f32_e32 v62, v62, v68
	s_delay_alu instid0(VALU_DEP_2) | instskip(SKIP_1) | instid1(VALU_DEP_1)
	v_dual_mul_f32 v74, 0xbe3c28d5, v10 :: v_dual_add_f32 v59, v59, v61
	v_dual_add_f32 v61, v65, v72 :: v_dual_mul_f32 v10, 0x3f65296c, v10
	v_fmamk_f32 v72, v9, 0x3ee437d1, v10
	s_delay_alu instid0(VALU_DEP_1) | instskip(NEXT) | instid1(VALU_DEP_1)
	v_dual_fmamk_f32 v66, v9, 0xbf7ba420, v74 :: v_dual_add_f32 v13, v72, v13
	v_dual_add_f32 v65, v73, v69 :: v_dual_add_f32 v66, v66, v67
	v_mul_f32_e32 v69, 0x3f65296c, v71
	v_fma_f32 v71, 0xbf7ba420, v9, -v74
	v_fma_f32 v9, 0x3ee437d1, v9, -v10
	s_delay_alu instid0(VALU_DEP_2) | instskip(NEXT) | instid1(VALU_DEP_4)
	v_add_f32_e32 v68, v71, v70
	v_fma_f32 v67, 0x3ee437d1, v75, -v69
	v_dual_sub_f32 v70, v1, v7 :: v_dual_add_f32 v1, v7, v1
	s_delay_alu instid0(VALU_DEP_4) | instskip(NEXT) | instid1(VALU_DEP_2)
	v_dual_fmac_f32 v69, 0x3ee437d1, v75 :: v_dual_add_f32 v8, v9, v8
	v_dual_add_f32 v56, v67, v56 :: v_dual_mul_f32 v9, 0x3f65296c, v70
	v_dual_add_f32 v67, v6, v0 :: v_dual_sub_f32 v0, v0, v6
	v_mul_f32_e32 v6, 0xbf06c442, v70
	s_delay_alu instid0(VALU_DEP_2) | instskip(NEXT) | instid1(VALU_DEP_2)
	v_dual_add_f32 v18, v69, v18 :: v_dual_mul_f32 v7, 0xbf06c442, v0
	v_fma_f32 v10, 0xbf59a7d5, v67, -v6
	s_delay_alu instid0(VALU_DEP_2) | instskip(SKIP_1) | instid1(VALU_DEP_3)
	v_fmamk_f32 v69, v1, 0xbf59a7d5, v7
	v_fma_f32 v7, 0xbf59a7d5, v1, -v7
	v_add_f32_e32 v10, v10, v11
	v_fma_f32 v11, 0x3ee437d1, v67, -v9
	v_fmac_f32_e32 v9, 0x3ee437d1, v67
	v_fmac_f32_e32 v6, 0xbf59a7d5, v67
	v_add_f32_e32 v16, v69, v16
	v_mul_f32_e32 v69, 0x3f65296c, v0
	v_add_f32_e32 v7, v7, v12
	v_add_f32_e32 v11, v11, v17
	v_dual_add_f32 v9, v9, v21 :: v_dual_add_f32 v6, v6, v14
	s_delay_alu instid0(VALU_DEP_4) | instskip(SKIP_2) | instid1(VALU_DEP_3)
	v_fmamk_f32 v14, v1, 0x3ee437d1, v69
	v_fma_f32 v17, 0x3ee437d1, v1, -v69
	v_dual_mul_f32 v12, 0xbf7ee86f, v70 :: v_dual_mul_f32 v69, 0xbf7ee86f, v0
	v_dual_mul_f32 v21, 0x3f4c4adb, v70 :: v_dual_add_f32 v14, v14, v15
	s_delay_alu instid0(VALU_DEP_3) | instskip(NEXT) | instid1(VALU_DEP_3)
	v_add_f32_e32 v15, v17, v20
	v_fma_f32 v71, 0x3dbcf732, v67, -v12
	s_delay_alu instid0(VALU_DEP_4) | instskip(NEXT) | instid1(VALU_DEP_2)
	v_dual_fmamk_f32 v17, v1, 0x3dbcf732, v69 :: v_dual_fmac_f32 v12, 0x3dbcf732, v67
	v_add_f32_e32 v20, v71, v23
	v_fma_f32 v23, 0x3dbcf732, v1, -v69
	s_delay_alu instid0(VALU_DEP_3) | instskip(SKIP_2) | instid1(VALU_DEP_4)
	v_dual_add_f32 v17, v17, v50 :: v_dual_mul_f32 v50, 0x3f4c4adb, v0
	v_fma_f32 v69, 0xbf1a4643, v67, -v21
	v_add_f32_e32 v12, v12, v19
	v_add_f32_e32 v19, v23, v51
	v_mul_f32_e32 v23, 0xbeb8f4ab, v70
	v_fmamk_f32 v51, v1, 0xbf1a4643, v50
	v_dual_add_f32 v52, v69, v52 :: v_dual_fmac_f32 v21, 0xbf1a4643, v67
	s_delay_alu instid0(VALU_DEP_3) | instskip(NEXT) | instid1(VALU_DEP_3)
	v_fma_f32 v69, 0x3f6eb680, v67, -v23
	v_add_f32_e32 v51, v51, v53
	v_fma_f32 v50, 0xbf1a4643, v1, -v50
	v_mul_f32_e32 v53, 0xbeb8f4ab, v0
	v_add_f32_e32 v21, v21, v22
	s_delay_alu instid0(VALU_DEP_3) | instskip(SKIP_2) | instid1(VALU_DEP_3)
	v_dual_fmac_f32 v23, 0x3f6eb680, v67 :: v_dual_add_f32 v22, v50, v54
	v_add_f32_e32 v50, v69, v58
	v_dual_mul_f32 v54, 0xbe3c28d5, v70 :: v_dual_mul_f32 v69, 0xbe3c28d5, v0
	v_dual_fmamk_f32 v58, v1, 0x3f6eb680, v53 :: v_dual_add_f32 v23, v23, v55
	v_fma_f32 v53, 0x3f6eb680, v1, -v53
	s_delay_alu instid0(VALU_DEP_3) | instskip(NEXT) | instid1(VALU_DEP_4)
	v_fma_f32 v71, 0xbf7ba420, v67, -v54
	v_dual_fmac_f32 v54, 0xbf7ba420, v67 :: v_dual_fmamk_f32 v55, v1, 0xbf7ba420, v69
	s_delay_alu instid0(VALU_DEP_4) | instskip(NEXT) | instid1(VALU_DEP_3)
	v_add_f32_e32 v57, v58, v57
	v_dual_add_f32 v53, v53, v60 :: v_dual_add_f32 v58, v71, v63
	v_mul_f32_e32 v60, 0x3f2c7751, v70
	v_fma_f32 v63, 0xbf7ba420, v1, -v69
	v_dual_add_f32 v54, v54, v59 :: v_dual_add_f32 v55, v55, v64
	v_mul_f32_e32 v64, 0x3f2c7751, v0
	s_delay_alu instid0(VALU_DEP_4) | instskip(NEXT) | instid1(VALU_DEP_4)
	v_fma_f32 v69, 0x3f3d2fb0, v67, -v60
	v_dual_add_f32 v59, v63, v61 :: v_dual_fmac_f32 v60, 0x3f3d2fb0, v67
	v_dual_mul_f32 v61, 0xbf763a35, v70 :: v_dual_mul_f32 v0, 0xbf763a35, v0
	s_delay_alu instid0(VALU_DEP_4) | instskip(SKIP_1) | instid1(VALU_DEP_4)
	v_fmamk_f32 v63, v1, 0x3f3d2fb0, v64
	v_fma_f32 v64, 0x3f3d2fb0, v1, -v64
	v_dual_add_f32 v60, v60, v62 :: v_dual_add_f32 v65, v69, v65
	s_delay_alu instid0(VALU_DEP_4) | instskip(NEXT) | instid1(VALU_DEP_3)
	v_fma_f32 v69, 0xbe8c1d8e, v67, -v61
	v_dual_fmac_f32 v61, 0xbe8c1d8e, v67 :: v_dual_add_f32 v62, v64, v68
	v_add_f32_e32 v68, v4, v2
	v_sub_f32_e32 v64, v3, v5
	s_delay_alu instid0(VALU_DEP_4) | instskip(SKIP_1) | instid1(VALU_DEP_3)
	v_dual_add_f32 v63, v63, v66 :: v_dual_add_f32 v56, v69, v56
	v_dual_fmamk_f32 v66, v1, 0xbe8c1d8e, v0 :: v_dual_sub_f32 v67, v2, v4
	v_dual_mul_f32 v2, 0xbe3c28d5, v64 :: v_dual_add_f32 v69, v5, v3
	v_fma_f32 v0, 0xbe8c1d8e, v1, -v0
	s_delay_alu instid0(VALU_DEP_3) | instskip(NEXT) | instid1(VALU_DEP_3)
	v_dual_add_f32 v66, v66, v13 :: v_dual_mul_f32 v1, 0xbe3c28d5, v67
	v_fma_f32 v3, 0xbf7ba420, v68, -v2
	s_delay_alu instid0(VALU_DEP_3) | instskip(SKIP_1) | instid1(VALU_DEP_3)
	v_dual_add_f32 v61, v61, v18 :: v_dual_add_f32 v70, v0, v8
	v_dual_mul_f32 v8, 0x3eb8f4ab, v64 :: v_dual_mul_f32 v5, 0x3eb8f4ab, v67
	v_add_f32_e32 v0, v3, v10
	v_fmac_f32_e32 v2, 0xbf7ba420, v68
	v_fma_f32 v3, 0xbf7ba420, v69, -v1
	v_fmamk_f32 v4, v69, 0xbf7ba420, v1
	v_mul_f32_e32 v13, 0xbf06c442, v67
	v_mul_f32_e32 v18, 0xbf4c4adb, v64
	s_delay_alu instid0(VALU_DEP_4) | instskip(NEXT) | instid1(VALU_DEP_4)
	v_dual_add_f32 v2, v2, v6 :: v_dual_add_f32 v3, v3, v7
	v_add_f32_e32 v1, v4, v16
	v_fma_f32 v4, 0x3f6eb680, v68, -v8
	v_fmamk_f32 v6, v69, 0x3f6eb680, v5
	v_fmac_f32_e32 v8, 0x3f6eb680, v68
	v_fma_f32 v7, 0x3f6eb680, v69, -v5
	v_mul_f32_e32 v10, 0xbf06c442, v64
	s_delay_alu instid0(VALU_DEP_4) | instskip(NEXT) | instid1(VALU_DEP_3)
	v_dual_add_f32 v4, v4, v11 :: v_dual_add_f32 v5, v6, v14
	v_dual_add_f32 v6, v8, v9 :: v_dual_add_f32 v7, v7, v15
	s_delay_alu instid0(VALU_DEP_3) | instskip(SKIP_2) | instid1(VALU_DEP_3)
	v_fma_f32 v11, 0xbf59a7d5, v68, -v10
	v_fmamk_f32 v9, v69, 0xbf59a7d5, v13
	v_mul_f32_e32 v14, 0x3f2c7751, v64
	v_add_f32_e32 v8, v11, v20
	v_fma_f32 v11, 0xbf59a7d5, v69, -v13
	s_delay_alu instid0(VALU_DEP_4) | instskip(SKIP_4) | instid1(VALU_DEP_4)
	v_add_f32_e32 v9, v9, v17
	v_mul_f32_e32 v17, 0xbf4c4adb, v67
	v_mul_f32_e32 v13, 0x3f2c7751, v67
	v_fma_f32 v15, 0x3f3d2fb0, v68, -v14
	v_add_f32_e32 v11, v11, v19
	v_fmamk_f32 v19, v69, 0xbf1a4643, v17
	v_fmac_f32_e32 v10, 0xbf59a7d5, v68
	v_fma_f32 v20, 0xbf1a4643, v69, -v17
	s_delay_alu instid0(VALU_DEP_3) | instskip(NEXT) | instid1(VALU_DEP_2)
	v_dual_fmamk_f32 v16, v69, 0x3f3d2fb0, v13 :: v_dual_add_f32 v17, v19, v57
	v_dual_add_f32 v10, v10, v12 :: v_dual_add_f32 v19, v20, v53
	v_add_f32_e32 v12, v15, v52
	v_fma_f32 v15, 0x3f3d2fb0, v69, -v13
	s_delay_alu instid0(VALU_DEP_4) | instskip(SKIP_2) | instid1(VALU_DEP_4)
	v_add_f32_e32 v13, v16, v51
	v_fma_f32 v16, 0xbf1a4643, v68, -v18
	v_mul_f32_e32 v53, 0xbf763a35, v67
	v_dual_fmac_f32 v18, 0xbf1a4643, v68 :: v_dual_add_f32 v15, v15, v22
	v_fmac_f32_e32 v14, 0x3f3d2fb0, v68
	s_delay_alu instid0(VALU_DEP_3) | instskip(SKIP_2) | instid1(VALU_DEP_4)
	v_dual_add_f32 v16, v16, v50 :: v_dual_fmamk_f32 v51, v69, 0xbe8c1d8e, v53
	v_mul_f32_e32 v22, 0x3f65296c, v64
	v_fma_f32 v53, 0xbe8c1d8e, v69, -v53
	v_add_f32_e32 v14, v14, v21
	v_mul_f32_e32 v50, 0x3f65296c, v67
	v_add_f32_e32 v51, v51, v63
	v_fma_f32 v21, 0x3ee437d1, v68, -v22
	v_dual_add_f32 v53, v53, v62 :: v_dual_fmac_f32 v22, 0x3ee437d1, v68
	v_dual_add_f32 v18, v18, v23 :: v_dual_mul_f32 v57, 0x3f7ee86f, v64
	s_delay_alu instid0(VALU_DEP_3) | instskip(NEXT) | instid1(VALU_DEP_3)
	v_add_f32_e32 v20, v21, v58
	v_dual_fmamk_f32 v21, v69, 0x3ee437d1, v50 :: v_dual_add_f32 v22, v22, v54
	v_mul_f32_e32 v54, 0x3f7ee86f, v67
	v_fma_f32 v23, 0x3ee437d1, v69, -v50
	s_delay_alu instid0(VALU_DEP_3) | instskip(SKIP_1) | instid1(VALU_DEP_4)
	v_add_f32_e32 v21, v21, v55
	v_fma_f32 v55, 0x3dbcf732, v68, -v57
	v_fmamk_f32 v58, v69, 0x3dbcf732, v54
	s_delay_alu instid0(VALU_DEP_4) | instskip(SKIP_1) | instid1(VALU_DEP_3)
	v_dual_mul_f32 v52, 0xbf763a35, v64 :: v_dual_add_f32 v23, v23, v59
	v_fma_f32 v59, 0x3dbcf732, v69, -v54
	v_dual_add_f32 v54, v55, v56 :: v_dual_add_f32 v55, v58, v66
	s_delay_alu instid0(VALU_DEP_3) | instskip(SKIP_2) | instid1(VALU_DEP_3)
	v_fma_f32 v50, 0xbe8c1d8e, v68, -v52
	v_fmac_f32_e32 v57, 0x3dbcf732, v68
	v_fmac_f32_e32 v52, 0xbe8c1d8e, v68
	v_add_f32_e32 v50, v50, v65
	s_delay_alu instid0(VALU_DEP_3) | instskip(NEXT) | instid1(VALU_DEP_3)
	v_dual_add_f32 v56, v57, v61 :: v_dual_add_f32 v57, v59, v70
	v_add_f32_e32 v52, v52, v60
	ds_store_2addr_b64 v49, v[24:25], v[0:1] offset1:1
	ds_store_2addr_b64 v49, v[4:5], v[8:9] offset0:2 offset1:3
	ds_store_2addr_b64 v49, v[12:13], v[16:17] offset0:4 offset1:5
	;; [unrolled: 1-line block ×7, first 2 shown]
	ds_store_b64 v49, v[2:3] offset:128
	v_lshlrev_b32_e32 v8, 7, v48
	global_wb scope:SCOPE_SE
	s_wait_dscnt 0x0
	s_barrier_signal -1
	s_barrier_wait -1
	global_inv scope:SCOPE_SE
	s_clause 0x7
	global_load_b128 v[0:3], v8, s[20:21]
	global_load_b128 v[4:7], v8, s[20:21] offset:16
	global_load_b128 v[20:23], v8, s[20:21] offset:32
	;; [unrolled: 1-line block ×7, first 2 shown]
	ds_load_2addr_b64 v[8:11], v46 offset0:17 offset1:34
	ds_load_2addr_b32 v[12:13], v46 offset0:102 offset1:103
	ds_load_2addr_b64 v[14:17], v46 offset0:68 offset1:85
	ds_load_b64 v[24:25], v47
	ds_load_2addr_b64 v[68:71], v46 offset0:102 offset1:119
	ds_load_2addr_b64 v[72:75], v46 offset0:136 offset1:153
	;; [unrolled: 1-line block ×5, first 2 shown]
	ds_load_b64 v[88:89], v46 offset:2176
	global_wb scope:SCOPE_SE
	s_wait_loadcnt_dscnt 0x0
	s_barrier_signal -1
	s_barrier_wait -1
	global_inv scope:SCOPE_SE
	v_mul_f32_e32 v18, v1, v9
	v_dual_mul_f32 v1, v1, v8 :: v_dual_mul_f32 v90, v3, v10
	v_mul_f32_e32 v91, v5, v12
	s_delay_alu instid0(VALU_DEP_3) | instskip(NEXT) | instid1(VALU_DEP_3)
	v_fma_f32 v47, v0, v8, -v18
	v_dual_mul_f32 v8, v3, v11 :: v_dual_fmac_f32 v1, v0, v9
	v_mul_f32_e32 v0, v13, v5
	s_delay_alu instid0(VALU_DEP_4) | instskip(NEXT) | instid1(VALU_DEP_3)
	v_dual_mul_f32 v18, v14, v7 :: v_dual_fmac_f32 v91, v13, v4
	v_fma_f32 v92, v2, v10, -v8
	v_mul_f32_e32 v10, v68, v23
	s_delay_alu instid0(VALU_DEP_4) | instskip(SKIP_2) | instid1(VALU_DEP_4)
	v_fma_f32 v93, v4, v12, -v0
	v_mul_f32_e32 v0, v17, v21
	v_dual_fmac_f32 v18, v15, v6 :: v_dual_add_f32 v3, v1, v25
	v_fmac_f32_e32 v10, v69, v22
	v_fmac_f32_e32 v90, v2, v11
	v_mul_f32_e32 v2, v15, v7
	v_fma_f32 v15, v16, v20, -v0
	v_mul_f32_e32 v0, v71, v49
	v_mul_f32_e32 v8, v75, v53
	v_add_f32_e32 v5, v3, v90
	v_fma_f32 v19, v14, v6, -v2
	v_mul_f32_e32 v2, v69, v23
	v_mul_f32_e32 v6, v70, v49
	;; [unrolled: 1-line block ×3, first 2 shown]
	v_fma_f32 v7, v70, v48, -v0
	v_mul_f32_e32 v0, v73, v51
	v_fma_f32 v11, v68, v22, -v2
	v_add_f32_e32 v2, v47, v24
	v_dual_mul_f32 v14, v16, v21 :: v_dual_add_f32 v9, v5, v91
	s_delay_alu instid0(VALU_DEP_4) | instskip(SKIP_1) | instid1(VALU_DEP_4)
	v_fma_f32 v3, v72, v50, -v0
	v_fma_f32 v5, v74, v52, -v8
	v_add_f32_e32 v4, v2, v92
	v_mul_f32_e32 v2, v72, v51
	v_mul_f32_e32 v51, v89, v67
	;; [unrolled: 1-line block ×4, first 2 shown]
	v_add_f32_e32 v0, v4, v93
	v_fmac_f32_e32 v2, v73, v50
	v_mul_f32_e32 v50, v88, v67
	v_mul_f32_e32 v4, v74, v53
	v_fma_f32 v51, v88, v66, -v51
	v_fmac_f32_e32 v8, v77, v54
	v_fmac_f32_e32 v6, v71, v48
	;; [unrolled: 1-line block ×3, first 2 shown]
	v_mul_f32_e32 v23, v85, v63
	v_mul_f32_e32 v48, v84, v63
	v_fma_f32 v49, v86, v64, -v49
	s_delay_alu instid0(VALU_DEP_4) | instskip(NEXT) | instid1(VALU_DEP_4)
	v_dual_mul_f32 v22, v82, v61 :: v_dual_sub_f32 v53, v1, v50
	v_fma_f32 v23, v84, v62, -v23
	s_delay_alu instid0(VALU_DEP_2) | instskip(SKIP_4) | instid1(VALU_DEP_3)
	v_dual_fmac_f32 v22, v83, v60 :: v_dual_mul_f32 v55, 0xbeb8f4ab, v53
	v_fmac_f32_e32 v14, v17, v20
	v_add_f32_e32 v9, v9, v18
	v_dual_mul_f32 v20, v81, v59 :: v_dual_mul_f32 v77, 0xbf06c442, v53
	v_mul_f32_e32 v72, 0xbf4c4adb, v53
	v_dual_mul_f32 v68, 0xbf763a35, v53 :: v_dual_add_f32 v13, v9, v14
	v_fma_f32 v9, v76, v54, -v12
	v_mul_f32_e32 v12, v78, v57
	v_add_f32_e32 v54, v47, v51
	s_delay_alu instid0(VALU_DEP_4) | instskip(SKIP_1) | instid1(VALU_DEP_4)
	v_dual_mul_f32 v16, v79, v57 :: v_dual_add_f32 v17, v13, v10
	v_sub_f32_e32 v47, v47, v51
	v_fmac_f32_e32 v12, v79, v56
	s_delay_alu instid0(VALU_DEP_4)
	v_fma_f32 v79, 0xbf59a7d5, v54, -v77
	v_fmac_f32_e32 v77, 0xbf59a7d5, v54
	v_fma_f32 v13, v78, v56, -v16
	v_dual_mul_f32 v16, v80, v59 :: v_dual_add_f32 v21, v17, v6
	v_fma_f32 v17, v80, v58, -v20
	v_dual_add_f32 v56, v1, v50 :: v_dual_mul_f32 v71, 0xbf763a35, v47
	s_delay_alu instid0(VALU_DEP_3)
	v_fmac_f32_e32 v16, v81, v58
	v_fma_f32 v58, 0x3f6eb680, v54, -v55
	v_fmac_f32_e32 v55, 0x3f6eb680, v54
	v_mul_f32_e32 v57, 0xbeb8f4ab, v47
	v_mul_f32_e32 v59, 0xbf2c7751, v47
	;; [unrolled: 1-line block ×3, first 2 shown]
	v_dual_fmamk_f32 v73, v56, 0xbe8c1d8e, v71 :: v_dual_fmac_f32 v4, v75, v52
	v_dual_add_f32 v55, v55, v24 :: v_dual_fmac_f32 v48, v85, v62
	v_mul_f32_e32 v62, 0xbf65296c, v47
	v_mul_f32_e32 v74, 0xbf4c4adb, v47
	;; [unrolled: 1-line block ×3, first 2 shown]
	v_dual_mul_f32 v47, 0xbe3c28d5, v47 :: v_dual_add_f32 v20, v21, v2
	v_mul_f32_e32 v21, v83, v61
	v_fma_f32 v75, 0xbf1a4643, v54, -v72
	v_add_f32_e32 v73, v73, v25
	s_delay_alu instid0(VALU_DEP_4)
	v_fmamk_f32 v83, v56, 0xbf7ba420, v47
	v_add_f32_e32 v20, v20, v4
	v_fmamk_f32 v61, v56, 0x3f3d2fb0, v59
	v_fma_f32 v59, 0x3f3d2fb0, v56, -v59
	v_add_f32_e32 v75, v75, v24
	v_add_f32_e32 v83, v83, v25
	v_fma_f32 v47, 0xbf7ba420, v56, -v47
	s_delay_alu instid0(VALU_DEP_4) | instskip(SKIP_3) | instid1(VALU_DEP_4)
	v_dual_add_f32 v20, v20, v8 :: v_dual_add_f32 v59, v59, v25
	v_mul_f32_e32 v52, v86, v65
	v_mul_f32_e32 v65, 0xbf7ee86f, v53
	v_fmamk_f32 v69, v56, 0x3dbcf732, v66
	v_add_f32_e32 v20, v20, v12
	v_fma_f32 v70, 0xbe8c1d8e, v54, -v68
	v_fmac_f32_e32 v52, v87, v64
	v_fmamk_f32 v64, v56, 0x3ee437d1, v62
	v_fma_f32 v67, 0x3dbcf732, v54, -v65
	v_dual_add_f32 v20, v20, v16 :: v_dual_fmac_f32 v65, 0x3dbcf732, v54
	v_add_f32_e32 v69, v69, v25
	s_delay_alu instid0(VALU_DEP_3) | instskip(SKIP_1) | instid1(VALU_DEP_4)
	v_dual_add_f32 v64, v64, v25 :: v_dual_add_f32 v67, v67, v24
	v_add_f32_e32 v0, v0, v19
	v_dual_add_f32 v20, v20, v22 :: v_dual_add_f32 v65, v65, v24
	v_fma_f32 v71, 0xbe8c1d8e, v56, -v71
	v_add_f32_e32 v70, v70, v24
	s_delay_alu instid0(VALU_DEP_4) | instskip(NEXT) | instid1(VALU_DEP_4)
	v_add_f32_e32 v0, v0, v15
	v_add_f32_e32 v20, v20, v48
	v_fma_f32 v21, v82, v60, -v21
	v_add_f32_e32 v71, v71, v25
	v_mul_f32_e32 v60, 0xbf65296c, v53
	v_add_f32_e32 v0, v0, v11
	v_add_f32_e32 v20, v20, v52
	v_dual_fmamk_f32 v76, v56, 0xbf1a4643, v74 :: v_dual_add_f32 v77, v77, v24
	v_sub_f32_e32 v82, v90, v52
	s_delay_alu instid0(VALU_DEP_3)
	v_dual_add_f32 v52, v90, v52 :: v_dual_add_f32 v1, v20, v50
	v_mul_f32_e32 v20, 0xbf2c7751, v53
	v_dual_mul_f32 v53, 0xbe3c28d5, v53 :: v_dual_add_f32 v0, v0, v7
	v_add_f32_e32 v76, v76, v25
	v_fmamk_f32 v50, v56, 0x3f6eb680, v57
	v_fma_f32 v63, 0x3ee437d1, v54, -v60
	s_delay_alu instid0(VALU_DEP_4) | instskip(SKIP_1) | instid1(VALU_DEP_3)
	v_fma_f32 v81, 0xbf7ba420, v54, -v53
	v_dual_add_f32 v0, v0, v3 :: v_dual_fmac_f32 v53, 0xbf7ba420, v54
	v_dual_add_f32 v50, v50, v25 :: v_dual_add_f32 v63, v63, v24
	v_fmac_f32_e32 v60, 0x3ee437d1, v54
	s_delay_alu instid0(VALU_DEP_3)
	v_add_f32_e32 v0, v0, v5
	v_fma_f32 v66, 0x3dbcf732, v56, -v66
	v_fmac_f32_e32 v68, 0xbe8c1d8e, v54
	v_fmac_f32_e32 v72, 0xbf1a4643, v54
	v_add_f32_e32 v60, v60, v24
	v_add_f32_e32 v0, v0, v9
	;; [unrolled: 1-line block ×3, first 2 shown]
	v_mul_f32_e32 v84, 0xbf2c7751, v82
	v_fma_f32 v57, 0x3f6eb680, v56, -v57
	v_fma_f32 v62, 0x3ee437d1, v56, -v62
	v_add_f32_e32 v0, v0, v13
	v_fma_f32 v74, 0xbf1a4643, v56, -v74
	v_fmamk_f32 v80, v56, 0xbf59a7d5, v78
	v_fma_f32 v78, 0xbf59a7d5, v56, -v78
	v_add_f32_e32 v57, v57, v25
	v_add_f32_e32 v0, v0, v17
	v_dual_add_f32 v61, v61, v25 :: v_dual_add_f32 v68, v68, v24
	v_add_f32_e32 v72, v72, v24
	v_add_f32_e32 v74, v74, v25
	s_delay_alu instid0(VALU_DEP_4) | instskip(SKIP_2) | instid1(VALU_DEP_3)
	v_dual_add_f32 v0, v0, v21 :: v_dual_add_f32 v79, v79, v24
	v_add_f32_e32 v80, v80, v25
	v_dual_add_f32 v78, v78, v25 :: v_dual_add_f32 v81, v81, v24
	v_add_f32_e32 v0, v0, v23
	s_delay_alu instid0(VALU_DEP_1) | instskip(NEXT) | instid1(VALU_DEP_1)
	v_add_f32_e32 v0, v0, v49
	v_dual_add_f32 v0, v0, v51 :: v_dual_add_f32 v51, v58, v24
	v_fma_f32 v58, 0x3f3d2fb0, v54, -v20
	v_fmac_f32_e32 v20, 0x3f3d2fb0, v54
	v_sub_f32_e32 v54, v92, v49
	s_delay_alu instid0(VALU_DEP_3) | instskip(NEXT) | instid1(VALU_DEP_3)
	v_dual_add_f32 v49, v92, v49 :: v_dual_add_f32 v58, v58, v24
	v_add_f32_e32 v20, v20, v24
	s_delay_alu instid0(VALU_DEP_3) | instskip(NEXT) | instid1(VALU_DEP_3)
	v_mul_f32_e32 v56, 0xbf2c7751, v54
	v_fma_f32 v85, 0x3f3d2fb0, v49, -v84
	v_fmac_f32_e32 v84, 0x3f3d2fb0, v49
	s_delay_alu instid0(VALU_DEP_2)
	v_dual_mul_f32 v86, 0xbf4c4adb, v54 :: v_dual_add_f32 v51, v85, v51
	v_add_f32_e32 v62, v62, v25
	v_dual_add_f32 v24, v53, v24 :: v_dual_add_f32 v25, v47, v25
	v_fmamk_f32 v47, v52, 0x3f3d2fb0, v56
	v_mul_f32_e32 v53, 0xbf7ee86f, v82
	v_fma_f32 v56, 0x3f3d2fb0, v52, -v56
	v_mul_f32_e32 v85, 0xbf7ee86f, v54
	v_add_f32_e32 v55, v84, v55
	v_add_f32_e32 v47, v47, v50
	v_fma_f32 v50, 0x3dbcf732, v49, -v53
	v_dual_add_f32 v56, v56, v57 :: v_dual_mul_f32 v57, 0xbf4c4adb, v82
	v_fmac_f32_e32 v53, 0x3dbcf732, v49
	v_fma_f32 v84, 0x3dbcf732, v52, -v85
	s_delay_alu instid0(VALU_DEP_4) | instskip(SKIP_2) | instid1(VALU_DEP_4)
	v_add_f32_e32 v50, v50, v58
	v_fmamk_f32 v58, v52, 0x3dbcf732, v85
	v_fma_f32 v85, 0xbf1a4643, v49, -v57
	v_dual_add_f32 v20, v53, v20 :: v_dual_add_f32 v53, v84, v59
	v_fmac_f32_e32 v57, 0xbf1a4643, v49
	s_delay_alu instid0(VALU_DEP_3)
	v_dual_add_f32 v58, v58, v61 :: v_dual_add_f32 v59, v85, v63
	v_fmamk_f32 v61, v52, 0xbf1a4643, v86
	v_mul_f32_e32 v63, 0xbe3c28d5, v82
	v_fma_f32 v84, 0xbf1a4643, v52, -v86
	v_mul_f32_e32 v85, 0xbe3c28d5, v54
	v_add_f32_e32 v57, v57, v60
	v_add_f32_e32 v61, v61, v64
	v_fma_f32 v64, 0xbf7ba420, v49, -v63
	v_add_f32_e32 v60, v84, v62
	v_fmamk_f32 v62, v52, 0xbf7ba420, v85
	v_mul_f32_e32 v84, 0x3f06c442, v82
	s_delay_alu instid0(VALU_DEP_4) | instskip(SKIP_1) | instid1(VALU_DEP_4)
	v_dual_fmac_f32 v63, 0xbf7ba420, v49 :: v_dual_add_f32 v64, v64, v67
	v_fma_f32 v67, 0xbf7ba420, v52, -v85
	v_add_f32_e32 v62, v62, v69
	s_delay_alu instid0(VALU_DEP_4)
	v_fma_f32 v69, 0xbf59a7d5, v49, -v84
	v_mul_f32_e32 v85, 0x3f06c442, v54
	v_add_f32_e32 v63, v63, v65
	v_add_f32_e32 v65, v67, v66
	v_mul_f32_e32 v66, 0x3f763a35, v82
	v_add_f32_e32 v67, v69, v70
	v_dual_fmamk_f32 v69, v52, 0xbf59a7d5, v85 :: v_dual_fmac_f32 v84, 0xbf59a7d5, v49
	v_fma_f32 v70, 0xbf59a7d5, v52, -v85
	s_delay_alu instid0(VALU_DEP_4) | instskip(NEXT) | instid1(VALU_DEP_3)
	v_fma_f32 v85, 0xbe8c1d8e, v49, -v66
	v_dual_mul_f32 v86, 0x3f763a35, v54 :: v_dual_add_f32 v69, v69, v73
	s_delay_alu instid0(VALU_DEP_4) | instskip(NEXT) | instid1(VALU_DEP_4)
	v_add_f32_e32 v68, v84, v68
	v_add_f32_e32 v70, v70, v71
	s_delay_alu instid0(VALU_DEP_4) | instskip(NEXT) | instid1(VALU_DEP_4)
	v_add_f32_e32 v71, v85, v75
	v_fmamk_f32 v73, v52, 0xbe8c1d8e, v86
	v_mul_f32_e32 v75, 0x3f65296c, v82
	v_fmac_f32_e32 v66, 0xbe8c1d8e, v49
	v_mul_f32_e32 v84, 0x3f65296c, v54
	s_delay_alu instid0(VALU_DEP_4) | instskip(NEXT) | instid1(VALU_DEP_4)
	v_dual_mul_f32 v82, 0x3eb8f4ab, v82 :: v_dual_add_f32 v73, v73, v76
	v_fma_f32 v76, 0x3ee437d1, v49, -v75
	s_delay_alu instid0(VALU_DEP_4) | instskip(NEXT) | instid1(VALU_DEP_4)
	v_add_f32_e32 v66, v66, v72
	v_dual_fmamk_f32 v72, v52, 0x3ee437d1, v84 :: v_dual_fmac_f32 v75, 0x3ee437d1, v49
	v_mul_f32_e32 v54, 0x3eb8f4ab, v54
	s_delay_alu instid0(VALU_DEP_4) | instskip(SKIP_1) | instid1(VALU_DEP_4)
	v_add_f32_e32 v76, v76, v79
	v_fma_f32 v79, 0x3ee437d1, v52, -v84
	v_add_f32_e32 v72, v72, v80
	v_fma_f32 v80, 0x3f6eb680, v49, -v82
	v_add_f32_e32 v75, v75, v77
	v_sub_f32_e32 v77, v91, v48
	v_add_f32_e32 v78, v79, v78
	v_fma_f32 v85, 0xbe8c1d8e, v52, -v86
	v_add_f32_e32 v79, v80, v81
	s_delay_alu instid0(VALU_DEP_4)
	v_dual_add_f32 v81, v93, v23 :: v_dual_mul_f32 v84, 0xbf65296c, v77
	v_dual_sub_f32 v23, v93, v23 :: v_dual_fmamk_f32 v80, v52, 0x3f6eb680, v54
	v_fmac_f32_e32 v82, 0x3f6eb680, v49
	v_fma_f32 v49, 0x3f6eb680, v52, -v54
	v_add_f32_e32 v48, v91, v48
	v_fma_f32 v52, 0x3ee437d1, v81, -v84
	v_mul_f32_e32 v54, 0xbf65296c, v23
	s_delay_alu instid0(VALU_DEP_4) | instskip(SKIP_1) | instid1(VALU_DEP_4)
	v_dual_add_f32 v24, v82, v24 :: v_dual_add_f32 v25, v49, v25
	v_mul_f32_e32 v82, 0xbf4c4adb, v23
	v_add_f32_e32 v49, v52, v51
	s_delay_alu instid0(VALU_DEP_4) | instskip(SKIP_3) | instid1(VALU_DEP_4)
	v_fmamk_f32 v51, v48, 0x3ee437d1, v54
	v_mul_f32_e32 v52, 0xbf4c4adb, v77
	v_fma_f32 v54, 0x3ee437d1, v48, -v54
	v_dual_add_f32 v80, v80, v83 :: v_dual_mul_f32 v83, 0x3e3c28d5, v77
	v_add_f32_e32 v47, v51, v47
	s_delay_alu instid0(VALU_DEP_4) | instskip(NEXT) | instid1(VALU_DEP_4)
	v_fma_f32 v51, 0xbf1a4643, v81, -v52
	v_add_f32_e32 v54, v54, v56
	v_fmamk_f32 v56, v48, 0xbf1a4643, v82
	v_fmac_f32_e32 v52, 0xbf1a4643, v81
	v_fmac_f32_e32 v84, 0x3ee437d1, v81
	v_add_f32_e32 v50, v51, v50
	v_fma_f32 v51, 0xbf1a4643, v48, -v82
	v_add_f32_e32 v56, v56, v58
	v_fma_f32 v58, 0xbf7ba420, v81, -v83
	v_mul_f32_e32 v82, 0x3e3c28d5, v23
	v_add_f32_e32 v20, v52, v20
	v_dual_mul_f32 v52, 0x3f763a35, v77 :: v_dual_add_f32 v55, v84, v55
	v_add_f32_e32 v51, v51, v53
	s_delay_alu instid0(VALU_DEP_4)
	v_dual_add_f32 v53, v58, v59 :: v_dual_fmamk_f32 v58, v48, 0xbf7ba420, v82
	v_fmac_f32_e32 v83, 0xbf7ba420, v81
	v_fma_f32 v59, 0xbf7ba420, v48, -v82
	v_fma_f32 v82, 0xbe8c1d8e, v81, -v52
	v_mul_f32_e32 v84, 0x3f763a35, v23
	v_add_f32_e32 v58, v58, v61
	v_add_f32_e32 v57, v83, v57
	;; [unrolled: 1-line block ×3, first 2 shown]
	s_delay_alu instid0(VALU_DEP_4)
	v_dual_add_f32 v60, v82, v64 :: v_dual_fmamk_f32 v61, v48, 0xbe8c1d8e, v84
	v_mul_f32_e32 v64, 0x3f2c7751, v77
	v_fmac_f32_e32 v52, 0xbe8c1d8e, v81
	v_fma_f32 v82, 0xbe8c1d8e, v48, -v84
	v_mul_f32_e32 v83, 0x3f2c7751, v23
	v_add_f32_e32 v61, v61, v62
	v_fma_f32 v62, 0x3f3d2fb0, v81, -v64
	s_delay_alu instid0(VALU_DEP_4) | instskip(NEXT) | instid1(VALU_DEP_4)
	v_dual_add_f32 v52, v52, v63 :: v_dual_add_f32 v63, v82, v65
	v_fmamk_f32 v65, v48, 0x3f3d2fb0, v83
	v_mul_f32_e32 v82, 0xbeb8f4ab, v77
	v_fmac_f32_e32 v64, 0x3f3d2fb0, v81
	v_add_f32_e32 v62, v62, v67
	v_fma_f32 v67, 0x3f3d2fb0, v48, -v83
	v_add_f32_e32 v65, v65, v69
	v_fma_f32 v69, 0x3f6eb680, v81, -v82
	v_dual_mul_f32 v83, 0xbeb8f4ab, v23 :: v_dual_add_f32 v64, v64, v68
	s_delay_alu instid0(VALU_DEP_4) | instskip(NEXT) | instid1(VALU_DEP_2)
	v_dual_mul_f32 v68, 0xbf7ee86f, v77 :: v_dual_add_f32 v67, v67, v70
	v_dual_add_f32 v69, v69, v71 :: v_dual_fmamk_f32 v70, v48, 0x3f6eb680, v83
	v_fma_f32 v71, 0x3f6eb680, v48, -v83
	s_delay_alu instid0(VALU_DEP_3) | instskip(SKIP_3) | instid1(VALU_DEP_4)
	v_fma_f32 v83, 0x3dbcf732, v81, -v68
	v_mul_f32_e32 v84, 0xbf7ee86f, v23
	v_fmac_f32_e32 v68, 0x3dbcf732, v81
	v_add_f32_e32 v70, v70, v73
	v_dual_fmac_f32 v82, 0x3f6eb680, v81 :: v_dual_add_f32 v73, v83, v76
	v_mul_f32_e32 v76, 0xbf06c442, v77
	v_fma_f32 v77, 0x3dbcf732, v48, -v84
	v_add_f32_e32 v68, v68, v75
	s_delay_alu instid0(VALU_DEP_4) | instskip(NEXT) | instid1(VALU_DEP_3)
	v_dual_mul_f32 v23, 0xbf06c442, v23 :: v_dual_add_f32 v66, v82, v66
	v_add_f32_e32 v75, v77, v78
	v_sub_f32_e32 v77, v18, v22
	v_add_f32_e32 v18, v18, v22
	v_add_f32_e32 v74, v85, v74
	v_fmamk_f32 v82, v48, 0xbf59a7d5, v23
	v_fma_f32 v23, 0xbf59a7d5, v48, -v23
	s_delay_alu instid0(VALU_DEP_3) | instskip(NEXT) | instid1(VALU_DEP_2)
	v_dual_add_f32 v71, v71, v74 :: v_dual_fmamk_f32 v74, v48, 0x3dbcf732, v84
	v_add_f32_e32 v23, v23, v25
	s_delay_alu instid0(VALU_DEP_4) | instskip(NEXT) | instid1(VALU_DEP_3)
	v_dual_mul_f32 v25, 0xbe3c28d5, v77 :: v_dual_add_f32 v78, v82, v80
	v_add_f32_e32 v72, v74, v72
	v_fma_f32 v74, 0xbf59a7d5, v81, -v76
	v_fmac_f32_e32 v76, 0xbf59a7d5, v81
	s_delay_alu instid0(VALU_DEP_2) | instskip(SKIP_1) | instid1(VALU_DEP_3)
	v_dual_add_f32 v74, v74, v79 :: v_dual_add_f32 v79, v19, v21
	v_sub_f32_e32 v19, v19, v21
	v_dual_mul_f32 v21, 0xbf7ee86f, v77 :: v_dual_add_f32 v24, v76, v24
	s_delay_alu instid0(VALU_DEP_2) | instskip(NEXT) | instid1(VALU_DEP_2)
	v_mul_f32_e32 v22, 0xbf7ee86f, v19
	v_fma_f32 v48, 0x3dbcf732, v79, -v21
	s_delay_alu instid0(VALU_DEP_2) | instskip(NEXT) | instid1(VALU_DEP_2)
	v_dual_fmac_f32 v21, 0x3dbcf732, v79 :: v_dual_fmamk_f32 v76, v18, 0x3dbcf732, v22
	v_add_f32_e32 v48, v48, v49
	v_fma_f32 v22, 0x3dbcf732, v18, -v22
	v_fma_f32 v49, 0xbf7ba420, v79, -v25
	s_delay_alu instid0(VALU_DEP_4) | instskip(SKIP_4) | instid1(VALU_DEP_3)
	v_add_f32_e32 v21, v21, v55
	v_add_f32_e32 v47, v76, v47
	v_mul_f32_e32 v76, 0xbe3c28d5, v19
	v_add_f32_e32 v22, v22, v54
	v_dual_add_f32 v49, v49, v50 :: v_dual_mul_f32 v50, 0x3f763a35, v77
	v_dual_fmac_f32 v25, 0xbf7ba420, v79 :: v_dual_fmamk_f32 v54, v18, 0xbf7ba420, v76
	v_fma_f32 v55, 0xbf7ba420, v18, -v76
	v_mul_f32_e32 v76, 0x3f763a35, v19
	s_delay_alu instid0(VALU_DEP_4) | instskip(NEXT) | instid1(VALU_DEP_4)
	v_fma_f32 v80, 0xbe8c1d8e, v79, -v50
	v_add_f32_e32 v20, v25, v20
	v_fmac_f32_e32 v50, 0xbe8c1d8e, v79
	v_add_f32_e32 v25, v55, v51
	v_fmamk_f32 v51, v18, 0xbe8c1d8e, v76
	v_dual_mul_f32 v55, 0x3eb8f4ab, v77 :: v_dual_add_f32 v54, v54, v56
	v_fma_f32 v56, 0xbe8c1d8e, v18, -v76
	s_delay_alu instid0(VALU_DEP_3) | instskip(SKIP_1) | instid1(VALU_DEP_4)
	v_dual_add_f32 v50, v50, v57 :: v_dual_add_f32 v51, v51, v58
	v_mul_f32_e32 v58, 0x3eb8f4ab, v19
	v_fma_f32 v76, 0x3f6eb680, v79, -v55
	s_delay_alu instid0(VALU_DEP_4) | instskip(SKIP_1) | instid1(VALU_DEP_3)
	v_dual_mul_f32 v57, 0xbf65296c, v77 :: v_dual_add_f32 v56, v56, v59
	v_fmac_f32_e32 v55, 0x3f6eb680, v79
	v_dual_fmamk_f32 v59, v18, 0x3f6eb680, v58 :: v_dual_add_f32 v60, v76, v60
	v_fma_f32 v58, 0x3f6eb680, v18, -v58
	s_delay_alu instid0(VALU_DEP_4) | instskip(NEXT) | instid1(VALU_DEP_4)
	v_fma_f32 v76, 0x3ee437d1, v79, -v57
	v_add_f32_e32 v52, v55, v52
	s_delay_alu instid0(VALU_DEP_4) | instskip(SKIP_1) | instid1(VALU_DEP_4)
	v_add_f32_e32 v59, v59, v61
	v_mul_f32_e32 v61, 0xbf65296c, v19
	v_dual_add_f32 v55, v58, v63 :: v_dual_add_f32 v58, v76, v62
	v_mul_f32_e32 v62, 0xbf06c442, v77
	v_fmac_f32_e32 v57, 0x3ee437d1, v79
	v_dual_mul_f32 v76, 0xbf06c442, v19 :: v_dual_add_f32 v53, v80, v53
	v_fmamk_f32 v63, v18, 0x3ee437d1, v61
	v_fma_f32 v61, 0x3ee437d1, v18, -v61
	v_fma_f32 v80, 0xbf59a7d5, v79, -v62
	s_delay_alu instid0(VALU_DEP_4) | instskip(NEXT) | instid1(VALU_DEP_4)
	v_dual_add_f32 v57, v57, v64 :: v_dual_fmamk_f32 v64, v18, 0xbf59a7d5, v76
	v_add_f32_e32 v63, v63, v65
	s_delay_alu instid0(VALU_DEP_4) | instskip(NEXT) | instid1(VALU_DEP_4)
	v_add_f32_e32 v61, v61, v67
	v_add_f32_e32 v65, v80, v69
	v_mul_f32_e32 v67, 0x3f4c4adb, v77
	v_fmac_f32_e32 v62, 0xbf59a7d5, v79
	v_fma_f32 v69, 0xbf59a7d5, v18, -v76
	v_add_f32_e32 v64, v64, v70
	v_mul_f32_e32 v70, 0x3f4c4adb, v19
	v_fma_f32 v76, 0xbf1a4643, v79, -v67
	v_add_f32_e32 v62, v62, v66
	v_dual_add_f32 v66, v69, v71 :: v_dual_mul_f32 v69, 0x3f2c7751, v77
	s_delay_alu instid0(VALU_DEP_4)
	v_fmamk_f32 v71, v18, 0xbf1a4643, v70
	v_fmac_f32_e32 v67, 0xbf1a4643, v79
	v_fma_f32 v70, 0xbf1a4643, v18, -v70
	v_add_f32_e32 v73, v76, v73
	v_fma_f32 v76, 0x3f3d2fb0, v79, -v69
	v_add_f32_e32 v71, v71, v72
	v_mul_f32_e32 v19, 0x3f2c7751, v19
	v_dual_add_f32 v67, v67, v68 :: v_dual_add_f32 v68, v70, v75
	v_dual_sub_f32 v72, v14, v16 :: v_dual_sub_f32 v75, v15, v17
	v_add_f32_e32 v70, v76, v74
	s_delay_alu instid0(VALU_DEP_4)
	v_fmamk_f32 v74, v18, 0x3f3d2fb0, v19
	v_fmac_f32_e32 v69, 0x3f3d2fb0, v79
	v_add_f32_e32 v15, v15, v17
	v_mul_f32_e32 v17, 0xbf763a35, v72
	v_fma_f32 v18, 0x3f3d2fb0, v18, -v19
	v_add_f32_e32 v14, v14, v16
	v_dual_mul_f32 v16, 0xbf763a35, v75 :: v_dual_add_f32 v19, v74, v78
	s_delay_alu instid0(VALU_DEP_4) | instskip(SKIP_2) | instid1(VALU_DEP_4)
	v_fma_f32 v74, 0xbe8c1d8e, v15, -v17
	v_add_f32_e32 v24, v69, v24
	v_add_f32_e32 v18, v18, v23
	v_fmamk_f32 v23, v14, 0xbe8c1d8e, v16
	v_mul_f32_e32 v69, 0x3f06c442, v72
	v_dual_fmac_f32 v17, 0xbe8c1d8e, v15 :: v_dual_add_f32 v48, v74, v48
	v_fma_f32 v16, 0xbe8c1d8e, v14, -v16
	s_delay_alu instid0(VALU_DEP_4) | instskip(NEXT) | instid1(VALU_DEP_4)
	v_add_f32_e32 v23, v23, v47
	v_fma_f32 v47, 0xbf59a7d5, v15, -v69
	s_delay_alu instid0(VALU_DEP_4) | instskip(NEXT) | instid1(VALU_DEP_4)
	v_dual_mul_f32 v74, 0x3f06c442, v75 :: v_dual_add_f32 v17, v17, v21
	v_dual_mul_f32 v21, 0x3f2c7751, v72 :: v_dual_add_f32 v16, v16, v22
	s_delay_alu instid0(VALU_DEP_2) | instskip(SKIP_1) | instid1(VALU_DEP_3)
	v_dual_add_f32 v22, v47, v49 :: v_dual_fmamk_f32 v47, v14, 0xbf59a7d5, v74
	v_fma_f32 v49, 0xbf59a7d5, v14, -v74
	v_fma_f32 v74, 0x3f3d2fb0, v15, -v21
	v_mul_f32_e32 v76, 0x3f2c7751, v75
	v_fmac_f32_e32 v69, 0xbf59a7d5, v15
	v_add_f32_e32 v47, v47, v54
	v_add_f32_e32 v25, v49, v25
	;; [unrolled: 1-line block ×3, first 2 shown]
	v_fmamk_f32 v53, v14, 0x3f3d2fb0, v76
	v_mul_f32_e32 v54, 0xbf65296c, v72
	v_dual_add_f32 v20, v69, v20 :: v_dual_fmac_f32 v21, 0x3f3d2fb0, v15
	v_fma_f32 v69, 0x3f3d2fb0, v14, -v76
	v_mul_f32_e32 v74, 0xbf65296c, v75
	v_add_f32_e32 v51, v53, v51
	v_fma_f32 v53, 0x3ee437d1, v15, -v54
	v_add_f32_e32 v21, v21, v50
	v_add_f32_e32 v50, v69, v56
	v_fmamk_f32 v56, v14, 0x3ee437d1, v74
	v_mul_f32_e32 v69, 0xbe3c28d5, v72
	v_dual_add_f32 v53, v53, v60 :: v_dual_fmac_f32 v54, 0x3ee437d1, v15
	v_fma_f32 v60, 0x3ee437d1, v14, -v74
	s_delay_alu instid0(VALU_DEP_4) | instskip(NEXT) | instid1(VALU_DEP_4)
	v_add_f32_e32 v56, v56, v59
	v_fma_f32 v59, 0xbf7ba420, v15, -v69
	v_mul_f32_e32 v74, 0xbe3c28d5, v75
	v_add_f32_e32 v52, v54, v52
	v_dual_add_f32 v54, v60, v55 :: v_dual_mul_f32 v55, 0x3f7ee86f, v72
	s_delay_alu instid0(VALU_DEP_3) | instskip(SKIP_2) | instid1(VALU_DEP_4)
	v_dual_add_f32 v58, v59, v58 :: v_dual_fmamk_f32 v59, v14, 0xbf7ba420, v74
	v_fmac_f32_e32 v69, 0xbf7ba420, v15
	v_fma_f32 v60, 0xbf7ba420, v14, -v74
	v_fma_f32 v74, 0x3dbcf732, v15, -v55
	v_mul_f32_e32 v76, 0x3f7ee86f, v75
	v_add_f32_e32 v59, v59, v63
	v_add_f32_e32 v57, v69, v57
	v_add_f32_e32 v60, v60, v61
	v_add_f32_e32 v61, v74, v65
	v_fmamk_f32 v63, v14, 0x3dbcf732, v76
	v_mul_f32_e32 v65, 0xbeb8f4ab, v72
	v_fmac_f32_e32 v55, 0x3dbcf732, v15
	v_mul_f32_e32 v69, 0xbeb8f4ab, v75
	v_mul_f32_e32 v72, 0xbf4c4adb, v72
	v_add_f32_e32 v63, v63, v64
	v_fma_f32 v64, 0x3f6eb680, v15, -v65
	s_delay_alu instid0(VALU_DEP_4)
	v_dual_add_f32 v55, v55, v62 :: v_dual_fmamk_f32 v62, v14, 0x3f6eb680, v69
	v_fmac_f32_e32 v65, 0x3f6eb680, v15
	v_fma_f32 v74, 0x3dbcf732, v14, -v76
	v_fma_f32 v69, 0x3f6eb680, v14, -v69
	v_add_f32_e32 v64, v64, v73
	v_add_f32_e32 v62, v62, v71
	v_fma_f32 v71, 0xbf1a4643, v15, -v72
	v_add_f32_e32 v65, v65, v67
	v_sub_f32_e32 v67, v10, v12
	v_dual_add_f32 v66, v74, v66 :: v_dual_mul_f32 v73, 0xbf4c4adb, v75
	s_delay_alu instid0(VALU_DEP_4) | instskip(NEXT) | instid1(VALU_DEP_3)
	v_dual_add_f32 v68, v69, v68 :: v_dual_add_f32 v69, v71, v70
	v_dual_add_f32 v71, v11, v13 :: v_dual_mul_f32 v74, 0xbf4c4adb, v67
	s_delay_alu instid0(VALU_DEP_3)
	v_dual_sub_f32 v11, v11, v13 :: v_dual_fmamk_f32 v70, v14, 0xbf1a4643, v73
	v_fmac_f32_e32 v72, 0xbf1a4643, v15
	v_fma_f32 v13, 0xbf1a4643, v14, -v73
	v_add_f32_e32 v10, v10, v12
	v_fma_f32 v12, 0xbf1a4643, v71, -v74
	v_mul_f32_e32 v14, 0xbf4c4adb, v11
	v_add_f32_e32 v15, v70, v19
	v_add_f32_e32 v19, v72, v24
	s_delay_alu instid0(VALU_DEP_4) | instskip(NEXT) | instid1(VALU_DEP_4)
	v_dual_add_f32 v13, v13, v18 :: v_dual_add_f32 v12, v12, v48
	v_fmamk_f32 v18, v10, 0xbf1a4643, v14
	v_mul_f32_e32 v24, 0x3f763a35, v67
	v_fma_f32 v14, 0xbf1a4643, v10, -v14
	v_mul_f32_e32 v48, 0x3f763a35, v11
	v_mul_f32_e32 v70, 0xbeb8f4ab, v67
	v_add_f32_e32 v18, v18, v23
	v_fma_f32 v23, 0xbe8c1d8e, v71, -v24
	v_add_f32_e32 v14, v14, v16
	v_fmamk_f32 v16, v10, 0xbe8c1d8e, v48
	v_fmac_f32_e32 v24, 0xbe8c1d8e, v71
	v_mul_f32_e32 v72, 0xbf06c442, v11
	v_add_f32_e32 v22, v23, v22
	v_fma_f32 v23, 0xbe8c1d8e, v10, -v48
	v_add_f32_e32 v16, v16, v47
	v_fma_f32 v47, 0x3f6eb680, v71, -v70
	v_mul_f32_e32 v48, 0xbeb8f4ab, v11
	s_delay_alu instid0(VALU_DEP_4) | instskip(NEXT) | instid1(VALU_DEP_3)
	v_dual_add_f32 v20, v24, v20 :: v_dual_add_f32 v23, v23, v25
	v_dual_mul_f32 v24, 0xbf06c442, v67 :: v_dual_add_f32 v25, v47, v49
	s_delay_alu instid0(VALU_DEP_3) | instskip(SKIP_2) | instid1(VALU_DEP_4)
	v_fmamk_f32 v47, v10, 0x3f6eb680, v48
	v_fma_f32 v48, 0x3f6eb680, v10, -v48
	v_fmac_f32_e32 v70, 0x3f6eb680, v71
	v_fma_f32 v49, 0xbf59a7d5, v71, -v24
	v_fmac_f32_e32 v24, 0xbf59a7d5, v71
	s_delay_alu instid0(VALU_DEP_4)
	v_dual_add_f32 v47, v47, v51 :: v_dual_add_f32 v48, v48, v50
	v_fmamk_f32 v50, v10, 0xbf59a7d5, v72
	v_mul_f32_e32 v51, 0x3f7ee86f, v67
	v_add_f32_e32 v21, v70, v21
	v_add_f32_e32 v49, v49, v53
	v_fma_f32 v53, 0xbf59a7d5, v10, -v72
	v_mul_f32_e32 v70, 0x3f7ee86f, v11
	v_add_f32_e32 v50, v50, v56
	v_fma_f32 v56, 0x3dbcf732, v71, -v51
	v_add_f32_e32 v24, v24, v52
	s_delay_alu instid0(VALU_DEP_4) | instskip(SKIP_1) | instid1(VALU_DEP_4)
	v_dual_add_f32 v52, v53, v54 :: v_dual_fmamk_f32 v53, v10, 0x3dbcf732, v70
	v_mul_f32_e32 v54, 0xbf2c7751, v67
	v_dual_add_f32 v56, v56, v58 :: v_dual_fmac_f32 v51, 0x3dbcf732, v71
	v_fma_f32 v58, 0x3dbcf732, v10, -v70
	s_delay_alu instid0(VALU_DEP_4) | instskip(NEXT) | instid1(VALU_DEP_4)
	v_add_f32_e32 v53, v53, v59
	v_fma_f32 v59, 0x3f3d2fb0, v71, -v54
	s_delay_alu instid0(VALU_DEP_4) | instskip(NEXT) | instid1(VALU_DEP_4)
	v_dual_mul_f32 v70, 0xbf2c7751, v11 :: v_dual_add_f32 v51, v51, v57
	v_dual_add_f32 v57, v58, v60 :: v_dual_mul_f32 v58, 0xbe3c28d5, v67
	s_delay_alu instid0(VALU_DEP_2) | instskip(SKIP_2) | instid1(VALU_DEP_4)
	v_dual_add_f32 v59, v59, v61 :: v_dual_fmamk_f32 v60, v10, 0x3f3d2fb0, v70
	v_fmac_f32_e32 v54, 0x3f3d2fb0, v71
	v_fma_f32 v61, 0x3f3d2fb0, v10, -v70
	v_fma_f32 v70, 0xbf7ba420, v71, -v58
	v_mul_f32_e32 v72, 0xbe3c28d5, v11
	v_mul_f32_e32 v11, 0x3f65296c, v11
	s_delay_alu instid0(VALU_DEP_4) | instskip(NEXT) | instid1(VALU_DEP_4)
	v_dual_add_f32 v54, v54, v55 :: v_dual_add_f32 v55, v61, v66
	v_dual_add_f32 v61, v70, v64 :: v_dual_mul_f32 v64, 0x3f65296c, v67
	v_fmac_f32_e32 v58, 0xbf7ba420, v71
	v_fma_f32 v66, 0xbf7ba420, v10, -v72
	v_dual_fmamk_f32 v67, v10, 0x3ee437d1, v11 :: v_dual_add_f32 v60, v60, v63
	v_fmamk_f32 v63, v10, 0xbf7ba420, v72
	s_delay_alu instid0(VALU_DEP_4) | instskip(NEXT) | instid1(VALU_DEP_4)
	v_add_f32_e32 v58, v58, v65
	v_add_f32_e32 v65, v66, v68
	s_delay_alu instid0(VALU_DEP_4)
	v_dual_sub_f32 v66, v6, v8 :: v_dual_add_f32 v15, v67, v15
	v_add_f32_e32 v67, v7, v9
	v_sub_f32_e32 v7, v7, v9
	v_add_f32_e32 v62, v63, v62
	v_fma_f32 v63, 0x3ee437d1, v71, -v64
	v_mul_f32_e32 v9, 0xbf06c442, v66
	v_fmac_f32_e32 v64, 0x3ee437d1, v71
	v_fma_f32 v10, 0x3ee437d1, v10, -v11
	v_add_f32_e32 v6, v6, v8
	v_mul_f32_e32 v8, 0xbf06c442, v7
	v_fmac_f32_e32 v74, 0xbf1a4643, v71
	v_fma_f32 v11, 0xbf59a7d5, v67, -v9
	v_dual_add_f32 v19, v64, v19 :: v_dual_add_f32 v10, v10, v13
	v_mul_f32_e32 v13, 0x3f65296c, v66
	v_fmamk_f32 v64, v6, 0xbf59a7d5, v8
	v_fma_f32 v8, 0xbf59a7d5, v6, -v8
	v_add_f32_e32 v17, v74, v17
	v_add_f32_e32 v11, v11, v12
	v_fmac_f32_e32 v9, 0xbf59a7d5, v67
	v_fma_f32 v12, 0x3ee437d1, v67, -v13
	v_add_f32_e32 v18, v64, v18
	v_mul_f32_e32 v64, 0x3f65296c, v7
	v_add_f32_e32 v8, v8, v14
	v_dual_mul_f32 v14, 0xbf7ee86f, v66 :: v_dual_add_f32 v9, v9, v17
	s_delay_alu instid0(VALU_DEP_3)
	v_dual_add_f32 v12, v12, v22 :: v_dual_fmamk_f32 v17, v6, 0x3ee437d1, v64
	v_fmac_f32_e32 v13, 0x3ee437d1, v67
	v_fma_f32 v22, 0x3ee437d1, v6, -v64
	v_mul_f32_e32 v64, 0xbf7ee86f, v7
	v_fma_f32 v68, 0x3dbcf732, v67, -v14
	v_add_f32_e32 v16, v17, v16
	v_add_f32_e32 v13, v13, v20
	;; [unrolled: 1-line block ×3, first 2 shown]
	v_fmamk_f32 v20, v6, 0x3dbcf732, v64
	v_dual_add_f32 v22, v68, v25 :: v_dual_mul_f32 v23, 0x3f4c4adb, v66
	v_fmac_f32_e32 v14, 0x3dbcf732, v67
	v_fma_f32 v25, 0x3dbcf732, v6, -v64
	s_delay_alu instid0(VALU_DEP_4) | instskip(SKIP_2) | instid1(VALU_DEP_4)
	v_add_f32_e32 v20, v20, v47
	v_mul_f32_e32 v47, 0x3f4c4adb, v7
	v_fma_f32 v64, 0xbf1a4643, v67, -v23
	v_dual_add_f32 v14, v14, v21 :: v_dual_add_f32 v21, v25, v48
	v_mul_f32_e32 v25, 0xbeb8f4ab, v66
	s_delay_alu instid0(VALU_DEP_3) | instskip(SKIP_2) | instid1(VALU_DEP_4)
	v_dual_fmamk_f32 v48, v6, 0xbf1a4643, v47 :: v_dual_add_f32 v49, v64, v49
	v_fmac_f32_e32 v23, 0xbf1a4643, v67
	v_fma_f32 v47, 0xbf1a4643, v6, -v47
	v_fma_f32 v64, 0x3f6eb680, v67, -v25
	s_delay_alu instid0(VALU_DEP_4) | instskip(NEXT) | instid1(VALU_DEP_4)
	v_add_f32_e32 v48, v48, v50
	v_dual_mul_f32 v50, 0xbeb8f4ab, v7 :: v_dual_add_f32 v23, v23, v24
	s_delay_alu instid0(VALU_DEP_4) | instskip(NEXT) | instid1(VALU_DEP_4)
	v_add_f32_e32 v24, v47, v52
	v_dual_add_f32 v47, v64, v56 :: v_dual_mul_f32 v52, 0xbe3c28d5, v66
	v_fmac_f32_e32 v25, 0x3f6eb680, v67
	v_mul_f32_e32 v64, 0xbe3c28d5, v7
	v_fmamk_f32 v56, v6, 0x3f6eb680, v50
	v_fma_f32 v50, 0x3f6eb680, v6, -v50
	v_fma_f32 v68, 0xbf7ba420, v67, -v52
	v_add_f32_e32 v25, v25, v51
	v_fmamk_f32 v51, v6, 0xbf7ba420, v64
	v_add_f32_e32 v53, v56, v53
	v_add_f32_e32 v50, v50, v57
	v_dual_add_f32 v56, v68, v59 :: v_dual_mul_f32 v57, 0x3f2c7751, v66
	v_fmac_f32_e32 v52, 0xbf7ba420, v67
	v_fma_f32 v59, 0xbf7ba420, v6, -v64
	v_dual_add_f32 v51, v51, v60 :: v_dual_mul_f32 v60, 0x3f2c7751, v7
	s_delay_alu instid0(VALU_DEP_4) | instskip(NEXT) | instid1(VALU_DEP_4)
	v_fma_f32 v64, 0x3f3d2fb0, v67, -v57
	v_add_f32_e32 v52, v52, v54
	s_delay_alu instid0(VALU_DEP_4) | instskip(NEXT) | instid1(VALU_DEP_4)
	v_dual_add_f32 v54, v59, v55 :: v_dual_mul_f32 v55, 0xbf763a35, v66
	v_fmamk_f32 v59, v6, 0x3f3d2fb0, v60
	v_add_f32_e32 v63, v63, v69
	v_add_f32_e32 v61, v64, v61
	v_fmac_f32_e32 v57, 0x3f3d2fb0, v67
	v_fma_f32 v60, 0x3f3d2fb0, v6, -v60
	v_fma_f32 v64, 0xbe8c1d8e, v67, -v55
	v_add_f32_e32 v59, v59, v62
	v_dual_mul_f32 v7, 0xbf763a35, v7 :: v_dual_sub_f32 v62, v2, v4
	s_delay_alu instid0(VALU_DEP_4) | instskip(NEXT) | instid1(VALU_DEP_4)
	v_dual_add_f32 v57, v57, v58 :: v_dual_add_f32 v58, v60, v65
	v_add_f32_e32 v60, v64, v63
	v_sub_f32_e32 v64, v3, v5
	v_add_f32_e32 v65, v3, v5
	v_mul_f32_e32 v5, 0xbe3c28d5, v62
	v_fma_f32 v3, 0xbe8c1d8e, v6, -v7
	v_fmamk_f32 v63, v6, 0xbe8c1d8e, v7
	v_dual_fmac_f32 v55, 0xbe8c1d8e, v67 :: v_dual_add_f32 v66, v2, v4
	v_mul_f32_e32 v4, 0xbe3c28d5, v64
	v_fma_f32 v2, 0xbf7ba420, v65, -v5
	v_add_f32_e32 v67, v3, v10
	v_dual_mul_f32 v10, 0x3eb8f4ab, v62 :: v_dual_add_f32 v63, v63, v15
	s_delay_alu instid0(VALU_DEP_3) | instskip(SKIP_1) | instid1(VALU_DEP_3)
	v_dual_fmac_f32 v5, 0xbf7ba420, v65 :: v_dual_add_f32 v2, v2, v11
	v_fma_f32 v6, 0xbf7ba420, v66, -v4
	v_fma_f32 v7, 0x3f6eb680, v65, -v10
	v_mul_f32_e32 v11, 0x3eb8f4ab, v64
	v_mul_f32_e32 v15, 0xbf06c442, v62
	v_dual_fmamk_f32 v3, v66, 0xbf7ba420, v4 :: v_dual_add_f32 v4, v5, v9
	v_add_f32_e32 v5, v6, v8
	s_delay_alu instid0(VALU_DEP_4) | instskip(SKIP_4) | instid1(VALU_DEP_4)
	v_dual_add_f32 v6, v7, v12 :: v_dual_fmamk_f32 v7, v66, 0x3f6eb680, v11
	v_fmac_f32_e32 v10, 0x3f6eb680, v65
	v_fma_f32 v9, 0x3f6eb680, v66, -v11
	v_fma_f32 v11, 0xbf59a7d5, v65, -v15
	v_mul_f32_e32 v12, 0xbf06c442, v64
	v_dual_add_f32 v7, v7, v16 :: v_dual_add_f32 v8, v10, v13
	s_delay_alu instid0(VALU_DEP_3) | instskip(NEXT) | instid1(VALU_DEP_3)
	v_dual_add_f32 v9, v9, v17 :: v_dual_add_f32 v10, v11, v22
	v_fmamk_f32 v11, v66, 0xbf59a7d5, v12
	v_mul_f32_e32 v16, 0x3f2c7751, v62
	v_fmac_f32_e32 v15, 0xbf59a7d5, v65
	v_mul_f32_e32 v17, 0x3f2c7751, v64
	v_add_f32_e32 v3, v3, v18
	v_fma_f32 v13, 0xbf59a7d5, v66, -v12
	v_add_f32_e32 v11, v11, v20
	v_fma_f32 v18, 0x3f3d2fb0, v65, -v16
	v_dual_add_f32 v12, v15, v14 :: v_dual_fmamk_f32 v15, v66, 0x3f3d2fb0, v17
	v_mul_f32_e32 v20, 0xbf4c4adb, v62
	v_fma_f32 v17, 0x3f3d2fb0, v66, -v17
	s_delay_alu instid0(VALU_DEP_4) | instskip(SKIP_1) | instid1(VALU_DEP_4)
	v_dual_add_f32 v55, v55, v19 :: v_dual_add_f32 v14, v18, v49
	v_fmac_f32_e32 v16, 0x3f3d2fb0, v65
	v_fma_f32 v18, 0xbf1a4643, v65, -v20
	v_mul_f32_e32 v19, 0xbf4c4adb, v64
	v_dual_add_f32 v17, v17, v24 :: v_dual_mul_f32 v24, 0x3f65296c, v62
	s_delay_alu instid0(VALU_DEP_4) | instskip(NEXT) | instid1(VALU_DEP_4)
	v_dual_add_f32 v13, v13, v21 :: v_dual_add_f32 v16, v16, v23
	v_add_f32_e32 v18, v18, v47
	s_delay_alu instid0(VALU_DEP_4)
	v_fmamk_f32 v21, v66, 0xbf1a4643, v19
	v_fma_f32 v22, 0xbf1a4643, v66, -v19
	v_fma_f32 v23, 0x3ee437d1, v65, -v24
	v_mul_f32_e32 v47, 0x3f65296c, v64
	v_fmac_f32_e32 v20, 0xbf1a4643, v65
	v_add_f32_e32 v19, v21, v53
	s_delay_alu instid0(VALU_DEP_4) | instskip(NEXT) | instid1(VALU_DEP_4)
	v_dual_add_f32 v21, v22, v50 :: v_dual_add_f32 v22, v23, v56
	v_fmamk_f32 v23, v66, 0x3ee437d1, v47
	v_dual_mul_f32 v49, 0xbf763a35, v62 :: v_dual_mul_f32 v50, 0xbf763a35, v64
	v_add_f32_e32 v20, v20, v25
	v_fmac_f32_e32 v24, 0x3ee437d1, v65
	v_fma_f32 v25, 0x3ee437d1, v66, -v47
	v_add_f32_e32 v23, v23, v51
	v_mul_f32_e32 v53, 0x3f7ee86f, v62
	v_mul_f32_e32 v51, 0x3f7ee86f, v64
	v_add_f32_e32 v15, v15, v48
	v_fma_f32 v47, 0xbe8c1d8e, v65, -v49
	v_fmamk_f32 v48, v66, 0xbe8c1d8e, v50
	v_dual_add_f32 v24, v24, v52 :: v_dual_add_f32 v25, v25, v54
	v_fma_f32 v52, 0x3dbcf732, v65, -v53
	v_fmamk_f32 v54, v66, 0x3dbcf732, v51
	v_fmac_f32_e32 v53, 0x3dbcf732, v65
	v_fma_f32 v56, 0x3dbcf732, v66, -v51
	v_fmac_f32_e32 v49, 0xbe8c1d8e, v65
	v_fma_f32 v50, 0xbe8c1d8e, v66, -v50
	v_add_f32_e32 v47, v47, v61
	v_add_f32_e32 v53, v53, v55
	;; [unrolled: 1-line block ×3, first 2 shown]
	v_dual_add_f32 v51, v52, v60 :: v_dual_add_f32 v52, v54, v63
	v_dual_add_f32 v54, v56, v67 :: v_dual_add_f32 v49, v49, v57
	v_add_f32_e32 v50, v50, v58
	ds_store_2addr_b64 v46, v[0:1], v[2:3] offset1:17
	ds_store_2addr_b64 v46, v[6:7], v[10:11] offset0:34 offset1:51
	ds_store_2addr_b64 v46, v[14:15], v[18:19] offset0:68 offset1:85
	;; [unrolled: 1-line block ×7, first 2 shown]
	ds_store_b64 v46, v[4:5] offset:2176
	global_wb scope:SCOPE_SE
	s_wait_dscnt 0x0
	s_barrier_signal -1
	s_barrier_wait -1
	global_inv scope:SCOPE_SE
	s_and_saveexec_b32 s8, s26
	s_cbranch_execz .LBB0_16
; %bb.15:
	v_mad_co_u64_u32 v[4:5], null, s6, v44, 0
	v_mad_co_u64_u32 v[6:7], null, s4, v42, 0
	;; [unrolled: 1-line block ×3, first 2 shown]
	v_add3_u32 v18, 0, v45, v43
	s_mul_u64 s[0:1], s[0:1], s[18:19]
	s_delay_alu instid0(VALU_DEP_4) | instskip(SKIP_2) | instid1(VALU_DEP_4)
	v_mov_b32_e32 v0, v5
	s_wait_alu 0xfffe
	s_lshl_b64 s[0:1], s[0:1], 3
	v_mov_b32_e32 v1, v7
	s_lshl_b64 s[8:9], s[16:17], 3
	s_wait_alu 0xfffe
	s_add_nc_u64 s[0:1], s[2:3], s[0:1]
	v_mad_co_u64_u32 v[13:14], null, s4, v39, 0
	v_mad_co_u64_u32 v[2:3], null, s7, v44, v[0:1]
	s_wait_alu 0xfffe
	s_add_nc_u64 s[0:1], s[0:1], s[8:9]
	s_delay_alu instid0(VALU_DEP_1)
	v_mad_co_u64_u32 v[10:11], null, s5, v42, v[1:2]
	v_mad_co_u64_u32 v[11:12], null, s4, v40, 0
	v_mov_b32_e32 v5, v2
	ds_load_2addr_b64 v[0:3], v18 offset1:17
	v_mov_b32_e32 v7, v10
	v_mad_co_u64_u32 v[9:10], null, s5, v41, v[9:10]
	v_mov_b32_e32 v10, v12
	v_lshlrev_b64_e32 v[4:5], 3, v[4:5]
	s_delay_alu instid0(VALU_DEP_4) | instskip(SKIP_1) | instid1(VALU_DEP_2)
	v_lshlrev_b64_e32 v[6:7], 3, v[6:7]
	s_wait_alu 0xfffe
	v_add_co_u32 v20, vcc_lo, s0, v4
	s_wait_alu 0xfffd
	s_delay_alu instid0(VALU_DEP_3) | instskip(NEXT) | instid1(VALU_DEP_2)
	v_add_co_ci_u32_e32 v21, vcc_lo, s1, v5, vcc_lo
	v_add_co_u32 v4, vcc_lo, v20, v6
	s_wait_alu 0xfffd
	s_delay_alu instid0(VALU_DEP_2)
	v_add_co_ci_u32_e32 v5, vcc_lo, v21, v7, vcc_lo
	v_mad_co_u64_u32 v[6:7], null, s5, v40, v[10:11]
	s_wait_dscnt 0x0
	global_store_b64 v[4:5], v[0:1], off
	v_lshlrev_b64_e32 v[0:1], 3, v[8:9]
	v_mad_co_u64_u32 v[9:10], null, s4, v38, 0
	v_mov_b32_e32 v8, v14
	v_mov_b32_e32 v12, v6
	ds_load_2addr_b64 v[4:7], v18 offset0:34 offset1:51
	v_add_co_u32 v0, vcc_lo, v20, v0
	s_wait_alu 0xfffd
	v_add_co_ci_u32_e32 v1, vcc_lo, v21, v1, vcc_lo
	v_mad_co_u64_u32 v[14:15], null, s5, v39, v[8:9]
	v_mov_b32_e32 v8, v10
	v_lshlrev_b64_e32 v[11:12], 3, v[11:12]
	s_delay_alu instid0(VALU_DEP_2) | instskip(NEXT) | instid1(VALU_DEP_2)
	v_mad_co_u64_u32 v[15:16], null, s5, v38, v[8:9]
	v_add_co_u32 v10, vcc_lo, v20, v11
	s_wait_alu 0xfffd
	s_delay_alu instid0(VALU_DEP_3)
	v_add_co_ci_u32_e32 v11, vcc_lo, v21, v12, vcc_lo
	v_mad_co_u64_u32 v[16:17], null, s4, v37, 0
	global_store_b64 v[0:1], v[2:3], off
	s_wait_dscnt 0x0
	global_store_b64 v[10:11], v[4:5], off
	v_mov_b32_e32 v10, v15
	v_lshlrev_b64_e32 v[4:5], 3, v[13:14]
	ds_load_2addr_b64 v[0:3], v18 offset0:68 offset1:85
	v_mad_co_u64_u32 v[11:12], null, s4, v36, 0
	v_lshlrev_b64_e32 v[9:10], 3, v[9:10]
	v_mov_b32_e32 v8, v17
	v_add_co_u32 v4, vcc_lo, v20, v4
	s_wait_alu 0xfffd
	v_add_co_ci_u32_e32 v5, vcc_lo, v21, v5, vcc_lo
	s_delay_alu instid0(VALU_DEP_3)
	v_mad_co_u64_u32 v[13:14], null, s5, v37, v[8:9]
	v_mov_b32_e32 v8, v12
	v_add_co_u32 v9, vcc_lo, v20, v9
	s_wait_alu 0xfffd
	v_add_co_ci_u32_e32 v10, vcc_lo, v21, v10, vcc_lo
	global_store_b64 v[4:5], v[6:7], off
	s_wait_dscnt 0x0
	global_store_b64 v[9:10], v[0:1], off
	v_mov_b32_e32 v17, v13
	v_mad_co_u64_u32 v[12:13], null, s5, v36, v[8:9]
	v_mad_co_u64_u32 v[13:14], null, s4, v35, 0
	;; [unrolled: 1-line block ×3, first 2 shown]
	ds_load_2addr_b64 v[4:7], v18 offset0:102 offset1:119
	v_lshlrev_b64_e32 v[0:1], 3, v[16:17]
	v_lshlrev_b64_e32 v[11:12], 3, v[11:12]
	v_mov_b32_e32 v8, v14
	s_delay_alu instid0(VALU_DEP_3) | instskip(NEXT) | instid1(VALU_DEP_2)
	v_add_co_u32 v0, vcc_lo, v20, v0
	v_mad_co_u64_u32 v[14:15], null, s5, v35, v[8:9]
	v_mov_b32_e32 v8, v10
	s_wait_alu 0xfffd
	v_add_co_ci_u32_e32 v1, vcc_lo, v21, v1, vcc_lo
	v_add_co_u32 v10, vcc_lo, v20, v11
	s_delay_alu instid0(VALU_DEP_3)
	v_mad_co_u64_u32 v[15:16], null, s5, v34, v[8:9]
	s_wait_alu 0xfffd
	v_add_co_ci_u32_e32 v11, vcc_lo, v21, v12, vcc_lo
	v_mad_co_u64_u32 v[16:17], null, s4, v33, 0
	global_store_b64 v[0:1], v[2:3], off
	s_wait_dscnt 0x0
	global_store_b64 v[10:11], v[4:5], off
	ds_load_2addr_b64 v[0:3], v18 offset0:136 offset1:153
	v_mov_b32_e32 v10, v15
	v_lshlrev_b64_e32 v[4:5], 3, v[13:14]
	v_mad_co_u64_u32 v[11:12], null, s4, v32, 0
	v_mov_b32_e32 v8, v17
	s_delay_alu instid0(VALU_DEP_4) | instskip(NEXT) | instid1(VALU_DEP_4)
	v_lshlrev_b64_e32 v[9:10], 3, v[9:10]
	v_add_co_u32 v4, vcc_lo, v20, v4
	s_wait_alu 0xfffd
	v_add_co_ci_u32_e32 v5, vcc_lo, v21, v5, vcc_lo
	s_delay_alu instid0(VALU_DEP_3)
	v_mad_co_u64_u32 v[13:14], null, s5, v33, v[8:9]
	v_mad_co_u64_u32 v[14:15], null, s4, v31, 0
	v_add_co_u32 v9, vcc_lo, v20, v9
	global_store_b64 v[4:5], v[6:7], off
	s_wait_alu 0xfffd
	v_add_co_ci_u32_e32 v10, vcc_lo, v21, v10, vcc_lo
	v_dual_mov_b32 v17, v13 :: v_dual_mov_b32 v4, v15
                                        ; kill: def $vgpr5 killed $sgpr0 killed $exec
	v_mov_b32_e32 v8, v12
	s_wait_dscnt 0x0
	global_store_b64 v[9:10], v[0:1], off
	v_lshlrev_b64_e32 v[0:1], 3, v[16:17]
	v_mad_co_u64_u32 v[4:5], null, s5, v31, v[4:5]
	v_mad_co_u64_u32 v[12:13], null, s5, v32, v[8:9]
	;; [unrolled: 1-line block ×3, first 2 shown]
	s_delay_alu instid0(VALU_DEP_4) | instskip(NEXT) | instid1(VALU_DEP_4)
	v_add_co_u32 v0, vcc_lo, v20, v0
	v_mov_b32_e32 v15, v4
	ds_load_2addr_b64 v[4:7], v18 offset0:170 offset1:187
	s_wait_alu 0xfffd
	v_add_co_ci_u32_e32 v1, vcc_lo, v21, v1, vcc_lo
	v_lshlrev_b64_e32 v[10:11], 3, v[11:12]
	v_mad_co_u64_u32 v[12:13], null, s4, v29, 0
	global_store_b64 v[0:1], v[2:3], off
	v_mov_b32_e32 v2, v9
	v_lshlrev_b64_e32 v[0:1], 3, v[14:15]
	v_add_co_u32 v10, vcc_lo, v20, v10
	s_wait_alu 0xfffd
	v_add_co_ci_u32_e32 v11, vcc_lo, v21, v11, vcc_lo
	v_mad_co_u64_u32 v[2:3], null, s5, v30, v[2:3]
	s_delay_alu instid0(VALU_DEP_4)
	v_add_co_u32 v0, vcc_lo, v20, v0
	s_wait_alu 0xfffd
	v_add_co_ci_u32_e32 v1, vcc_lo, v21, v1, vcc_lo
	s_wait_dscnt 0x0
	s_clause 0x1
	global_store_b64 v[10:11], v[4:5], off
	global_store_b64 v[0:1], v[6:7], off
	v_mov_b32_e32 v9, v2
	ds_load_2addr_b64 v[0:3], v18 offset0:204 offset1:221
	v_mov_b32_e32 v6, v13
	v_lshlrev_b64_e32 v[4:5], 3, v[8:9]
	v_mad_co_u64_u32 v[7:8], null, s4, v27, 0
	v_mad_co_u64_u32 v[9:10], null, s4, v28, 0
	s_delay_alu instid0(VALU_DEP_3) | instskip(SKIP_1) | instid1(VALU_DEP_4)
	v_add_co_u32 v4, vcc_lo, v20, v4
	s_wait_alu 0xfffd
	v_add_co_ci_u32_e32 v5, vcc_lo, v21, v5, vcc_lo
	s_delay_alu instid0(VALU_DEP_4)
	v_mad_co_u64_u32 v[13:14], null, s5, v29, v[6:7]
	v_mov_b32_e32 v6, v8
	v_mad_co_u64_u32 v[14:15], null, s4, v26, 0
	v_mov_b32_e32 v8, v10
	s_wait_dscnt 0x0
	global_store_b64 v[4:5], v[0:1], off
	v_mad_co_u64_u32 v[10:11], null, s5, v27, v[6:7]
	v_lshlrev_b64_e32 v[4:5], 3, v[12:13]
	v_mad_co_u64_u32 v[16:17], null, s5, v28, v[8:9]
	v_mov_b32_e32 v0, v15
	s_delay_alu instid0(VALU_DEP_4) | instskip(NEXT) | instid1(VALU_DEP_4)
	v_mov_b32_e32 v8, v10
	v_add_co_u32 v11, vcc_lo, v20, v4
	s_delay_alu instid0(VALU_DEP_3)
	v_mad_co_u64_u32 v[0:1], null, s5, v26, v[0:1]
	v_mov_b32_e32 v10, v16
	s_wait_alu 0xfffd
	v_add_co_ci_u32_e32 v12, vcc_lo, v21, v5, vcc_lo
	v_lshlrev_b64_e32 v[16:17], 3, v[7:8]
	ds_load_2addr_b64 v[4:7], v18 offset0:238 offset1:255
	ds_load_b64 v[18:19], v18 offset:2176
	v_mov_b32_e32 v15, v0
	v_lshlrev_b64_e32 v[8:9], 3, v[9:10]
	v_add_co_u32 v0, vcc_lo, v20, v16
	s_delay_alu instid0(VALU_DEP_3) | instskip(SKIP_2) | instid1(VALU_DEP_4)
	v_lshlrev_b64_e32 v[13:14], 3, v[14:15]
	s_wait_alu 0xfffd
	v_add_co_ci_u32_e32 v1, vcc_lo, v21, v17, vcc_lo
	v_add_co_u32 v8, vcc_lo, v20, v8
	s_wait_alu 0xfffd
	v_add_co_ci_u32_e32 v9, vcc_lo, v21, v9, vcc_lo
	v_add_co_u32 v13, vcc_lo, v20, v13
	s_wait_alu 0xfffd
	v_add_co_ci_u32_e32 v14, vcc_lo, v21, v14, vcc_lo
	global_store_b64 v[11:12], v[2:3], off
	s_wait_dscnt 0x1
	s_clause 0x1
	global_store_b64 v[0:1], v[4:5], off
	global_store_b64 v[8:9], v[6:7], off
	s_wait_dscnt 0x0
	global_store_b64 v[13:14], v[18:19], off
.LBB0_16:
	s_nop 0
	s_sendmsg sendmsg(MSG_DEALLOC_VGPRS)
	s_endpgm
	.section	.rodata,"a",@progbits
	.p2align	6, 0x0
	.amdhsa_kernel fft_rtc_fwd_len289_factors_17_17_wgs_119_tpt_17_sp_op_CI_CI_sbcc
		.amdhsa_group_segment_fixed_size 0
		.amdhsa_private_segment_fixed_size 0
		.amdhsa_kernarg_size 112
		.amdhsa_user_sgpr_count 2
		.amdhsa_user_sgpr_dispatch_ptr 0
		.amdhsa_user_sgpr_queue_ptr 0
		.amdhsa_user_sgpr_kernarg_segment_ptr 1
		.amdhsa_user_sgpr_dispatch_id 0
		.amdhsa_user_sgpr_private_segment_size 0
		.amdhsa_wavefront_size32 1
		.amdhsa_uses_dynamic_stack 0
		.amdhsa_enable_private_segment 0
		.amdhsa_system_sgpr_workgroup_id_x 1
		.amdhsa_system_sgpr_workgroup_id_y 0
		.amdhsa_system_sgpr_workgroup_id_z 0
		.amdhsa_system_sgpr_workgroup_info 0
		.amdhsa_system_vgpr_workitem_id 0
		.amdhsa_next_free_vgpr 94
		.amdhsa_next_free_sgpr 59
		.amdhsa_reserve_vcc 1
		.amdhsa_float_round_mode_32 0
		.amdhsa_float_round_mode_16_64 0
		.amdhsa_float_denorm_mode_32 3
		.amdhsa_float_denorm_mode_16_64 3
		.amdhsa_fp16_overflow 0
		.amdhsa_workgroup_processor_mode 1
		.amdhsa_memory_ordered 1
		.amdhsa_forward_progress 0
		.amdhsa_round_robin_scheduling 0
		.amdhsa_exception_fp_ieee_invalid_op 0
		.amdhsa_exception_fp_denorm_src 0
		.amdhsa_exception_fp_ieee_div_zero 0
		.amdhsa_exception_fp_ieee_overflow 0
		.amdhsa_exception_fp_ieee_underflow 0
		.amdhsa_exception_fp_ieee_inexact 0
		.amdhsa_exception_int_div_zero 0
	.end_amdhsa_kernel
	.text
.Lfunc_end0:
	.size	fft_rtc_fwd_len289_factors_17_17_wgs_119_tpt_17_sp_op_CI_CI_sbcc, .Lfunc_end0-fft_rtc_fwd_len289_factors_17_17_wgs_119_tpt_17_sp_op_CI_CI_sbcc
                                        ; -- End function
	.section	.AMDGPU.csdata,"",@progbits
; Kernel info:
; codeLenInByte = 16108
; NumSgprs: 61
; NumVgprs: 94
; ScratchSize: 0
; MemoryBound: 0
; FloatMode: 240
; IeeeMode: 1
; LDSByteSize: 0 bytes/workgroup (compile time only)
; SGPRBlocks: 7
; VGPRBlocks: 11
; NumSGPRsForWavesPerEU: 61
; NumVGPRsForWavesPerEU: 94
; Occupancy: 16
; WaveLimiterHint : 1
; COMPUTE_PGM_RSRC2:SCRATCH_EN: 0
; COMPUTE_PGM_RSRC2:USER_SGPR: 2
; COMPUTE_PGM_RSRC2:TRAP_HANDLER: 0
; COMPUTE_PGM_RSRC2:TGID_X_EN: 1
; COMPUTE_PGM_RSRC2:TGID_Y_EN: 0
; COMPUTE_PGM_RSRC2:TGID_Z_EN: 0
; COMPUTE_PGM_RSRC2:TIDIG_COMP_CNT: 0
	.text
	.p2alignl 7, 3214868480
	.fill 96, 4, 3214868480
	.type	__hip_cuid_8e7142c593071cc,@object ; @__hip_cuid_8e7142c593071cc
	.section	.bss,"aw",@nobits
	.globl	__hip_cuid_8e7142c593071cc
__hip_cuid_8e7142c593071cc:
	.byte	0                               ; 0x0
	.size	__hip_cuid_8e7142c593071cc, 1

	.ident	"AMD clang version 19.0.0git (https://github.com/RadeonOpenCompute/llvm-project roc-6.4.0 25133 c7fe45cf4b819c5991fe208aaa96edf142730f1d)"
	.section	".note.GNU-stack","",@progbits
	.addrsig
	.addrsig_sym __hip_cuid_8e7142c593071cc
	.amdgpu_metadata
---
amdhsa.kernels:
  - .args:
      - .actual_access:  read_only
        .address_space:  global
        .offset:         0
        .size:           8
        .value_kind:     global_buffer
      - .address_space:  global
        .offset:         8
        .size:           8
        .value_kind:     global_buffer
      - .offset:         16
        .size:           8
        .value_kind:     by_value
      - .actual_access:  read_only
        .address_space:  global
        .offset:         24
        .size:           8
        .value_kind:     global_buffer
      - .actual_access:  read_only
        .address_space:  global
        .offset:         32
        .size:           8
        .value_kind:     global_buffer
      - .actual_access:  read_only
        .address_space:  global
        .offset:         40
        .size:           8
        .value_kind:     global_buffer
      - .offset:         48
        .size:           8
        .value_kind:     by_value
      - .actual_access:  read_only
        .address_space:  global
        .offset:         56
        .size:           8
        .value_kind:     global_buffer
      - .actual_access:  read_only
        .address_space:  global
        .offset:         64
        .size:           8
        .value_kind:     global_buffer
      - .offset:         72
        .size:           4
        .value_kind:     by_value
      - .actual_access:  read_only
        .address_space:  global
        .offset:         80
        .size:           8
        .value_kind:     global_buffer
      - .actual_access:  read_only
        .address_space:  global
        .offset:         88
        .size:           8
        .value_kind:     global_buffer
      - .actual_access:  read_only
        .address_space:  global
        .offset:         96
        .size:           8
        .value_kind:     global_buffer
      - .actual_access:  write_only
        .address_space:  global
        .offset:         104
        .size:           8
        .value_kind:     global_buffer
    .group_segment_fixed_size: 0
    .kernarg_segment_align: 8
    .kernarg_segment_size: 112
    .language:       OpenCL C
    .language_version:
      - 2
      - 0
    .max_flat_workgroup_size: 119
    .name:           fft_rtc_fwd_len289_factors_17_17_wgs_119_tpt_17_sp_op_CI_CI_sbcc
    .private_segment_fixed_size: 0
    .sgpr_count:     61
    .sgpr_spill_count: 0
    .symbol:         fft_rtc_fwd_len289_factors_17_17_wgs_119_tpt_17_sp_op_CI_CI_sbcc.kd
    .uniform_work_group_size: 1
    .uses_dynamic_stack: false
    .vgpr_count:     94
    .vgpr_spill_count: 0
    .wavefront_size: 32
    .workgroup_processor_mode: 1
amdhsa.target:   amdgcn-amd-amdhsa--gfx1201
amdhsa.version:
  - 1
  - 2
...

	.end_amdgpu_metadata
